;; amdgpu-corpus repo=ROCm/rocBLAS kind=compiled arch=gfx1250 opt=O3
	.amdgcn_target "amdgcn-amd-amdhsa--gfx1250"
	.amdhsa_code_object_version 6
	.section	.text._ZL18rocblas_spr_kernelILi64ELi16ELi2E24rocblas_internal_val_ptrIfEPKfPfEvbbiT2_T3_lllT4_lli,"axG",@progbits,_ZL18rocblas_spr_kernelILi64ELi16ELi2E24rocblas_internal_val_ptrIfEPKfPfEvbbiT2_T3_lllT4_lli,comdat
	.globl	_ZL18rocblas_spr_kernelILi64ELi16ELi2E24rocblas_internal_val_ptrIfEPKfPfEvbbiT2_T3_lllT4_lli ; -- Begin function _ZL18rocblas_spr_kernelILi64ELi16ELi2E24rocblas_internal_val_ptrIfEPKfPfEvbbiT2_T3_lllT4_lli
	.p2align	8
	.type	_ZL18rocblas_spr_kernelILi64ELi16ELi2E24rocblas_internal_val_ptrIfEPKfPfEvbbiT2_T3_lllT4_lli,@function
_ZL18rocblas_spr_kernelILi64ELi16ELi2E24rocblas_internal_val_ptrIfEPKfPfEvbbiT2_T3_lllT4_lli: ; @_ZL18rocblas_spr_kernelILi64ELi16ELi2E24rocblas_internal_val_ptrIfEPKfPfEvbbiT2_T3_lllT4_lli
; %bb.0:
	s_clause 0x1
	s_load_b32 s2, s[0:1], 0x0
	s_load_b512 s[4:19], s[0:1], 0x8
	s_wait_kmcnt 0x0
	s_bitcmp0_b32 s2, 0
	s_mov_b32 s2, 0
	s_cbranch_scc0 .LBB0_2
; %bb.1:
	s_load_b32 s22, s[4:5], 0x0
	s_and_not1_b32 vcc_lo, exec_lo, s2
	s_cbranch_vccz .LBB0_3
	s_branch .LBB0_4
.LBB0_2:
                                        ; implicit-def: $sgpr22
.LBB0_3:
	s_wait_kmcnt 0x0
	s_mov_b32 s22, s4
.LBB0_4:
	s_wait_kmcnt 0x0
	s_cmp_eq_f32 s22, 0
	s_cbranch_scc1 .LBB0_20
; %bb.5:
	s_load_b32 s23, s[0:1], 0x48
	s_bfe_u32 s2, ttmp6, 0x40014
	s_lshr_b32 s3, ttmp7, 16
	s_add_co_i32 s2, s2, 1
	s_bfe_u32 s5, ttmp6, 0x40008
	s_mul_i32 s4, s3, s2
	s_getreg_b32 s2, hwreg(HW_REG_IB_STS2, 6, 4)
	s_add_co_i32 s5, s5, s4
	s_cmp_eq_u32 s2, 0
	s_cselect_b32 s4, s3, s5
	s_wait_kmcnt 0x0
	s_cmp_ge_u32 s4, s23
	s_cbranch_scc1 .LBB0_20
; %bb.6:
	s_load_b64 s[20:21], s[0:1], 0x0
	s_wait_xcnt 0x0
	s_lshl_b64 s[0:1], s[16:17], 2
	s_lshl_b64 s[24:25], s[8:9], 2
	v_bfe_u32 v1, v0, 10, 10
	v_and_b32_e32 v0, 0x3ff, v0
	s_add_nc_u64 s[6:7], s[6:7], s[24:25]
	s_wait_kmcnt 0x0
	s_bitcmp1_b32 s20, 8
	s_cselect_b32 vcc_lo, -1, 0
	s_bfe_u32 s5, ttmp6, 0x40010
	s_bfe_u32 s17, ttmp6, 0x4000c
	s_and_b32 s3, ttmp7, 0xffff
	s_add_co_i32 s5, s5, 1
	s_add_co_i32 s17, s17, 1
	s_bfe_u32 s8, ttmp6, 0x40004
	s_and_b32 s9, ttmp6, 15
	s_mul_i32 s5, s3, s5
	s_mul_i32 s17, ttmp9, s17
	s_xor_b32 s16, vcc_lo, -1
	s_add_co_i32 s8, s8, s5
	s_add_co_i32 s9, s9, s17
	s_cmp_eq_u32 s2, 0
	s_mov_b32 s5, 0
	s_cselect_b32 s2, s3, s8
	s_delay_alu instid0(SALU_CYCLE_1)
	v_lshl_add_u32 v8, s2, 4, v1
	s_cselect_b32 s2, ttmp9, s9
	s_lshl_b32 s3, s21, 1
	v_lshl_add_u32 v6, s2, 7, v0
	s_add_nc_u64 s[8:9], s[14:15], s[0:1]
	v_sub_nc_u32_e32 v0, s3, v8
	v_mad_u32 v12, v8, v8, v8
	s_delay_alu instid0(VALU_DEP_3) | instskip(SKIP_1) | instid1(VALU_DEP_4)
	v_dual_ashrrev_i32 v9, 31, v8 :: v_dual_ashrrev_i32 v7, 31, v6
	v_add_nc_u32_e32 v10, 64, v6
	v_mad_u32 v13, v8, v0, v8
	v_cmp_gt_i32_e64 s0, s21, v6
	s_delay_alu instid0(VALU_DEP_4)
	v_mul_u64_e32 v[0:1], s[10:11], v[8:9]
	v_mul_u64_e32 v[2:3], s[10:11], v[6:7]
	v_ashrrev_i32_e32 v11, 31, v10
	v_cmp_ge_i32_e64 s1, v6, v8
	v_cmp_le_i32_e64 s3, v6, v8
	v_lshrrev_b32_e32 v7, 31, v12
	v_cmp_gt_i32_e64 s2, s21, v8
	v_mul_u64_e32 v[4:5], s[10:11], v[10:11]
	v_dual_sub_nc_u32 v11, v6, v8 :: v_dual_lshrrev_b32 v9, 31, v13
	s_delay_alu instid0(VALU_DEP_4) | instskip(SKIP_3) | instid1(VALU_DEP_3)
	v_add_nc_u32_e32 v7, v12, v7
	s_and_b32 s10, s1, s0
	v_cmp_le_i32_e64 s0, v8, v10
	v_cmp_le_i32_e64 s1, v10, v8
	v_dual_add_nc_u32 v9, v13, v9 :: v_dual_ashrrev_i32 v7, 1, v7
	s_and_b32 s11, s3, s2
	s_and_b32 s15, s2, s1
	s_delay_alu instid0(VALU_DEP_1) | instskip(NEXT) | instid1(VALU_DEP_1)
	v_dual_ashrrev_i32 v9, 1, v9 :: v_dual_add_nc_u32 v7, v7, v6
	v_add_nc_u32_e32 v9, v11, v9
	s_delay_alu instid0(VALU_DEP_1) | instskip(SKIP_1) | instid1(VALU_DEP_2)
	v_cndmask_b32_e32 v6, v9, v7, vcc_lo
	v_cmp_gt_i32_e32 vcc_lo, s21, v10
	v_ashrrev_i32_e32 v7, 31, v6
	s_and_b32 s14, s0, vcc_lo
	s_branch .LBB0_8
.LBB0_7:                                ;   in Loop: Header=BB0_8 Depth=1
	s_wait_xcnt 0x0
	s_or_b32 exec_lo, exec_lo, s20
	s_add_co_i32 s4, s4, 0x10000
	s_delay_alu instid0(SALU_CYCLE_1)
	s_cmp_lt_u32 s4, s23
	s_cbranch_scc0 .LBB0_20
.LBB0_8:                                ; =>This Inner Loop Header: Depth=1
	s_and_b32 vcc_lo, exec_lo, s16
	s_mov_b32 s17, 0
	s_mov_b32 s0, -1
	s_cbranch_vccz .LBB0_10
; %bb.9:                                ;   in Loop: Header=BB0_8 Depth=1
	s_mov_b32 s0, 0
	s_and_b32 s17, s10, exec_lo
.LBB0_10:                               ;   in Loop: Header=BB0_8 Depth=1
	s_and_not1_b32 vcc_lo, exec_lo, s0
	s_cbranch_vccnz .LBB0_12
; %bb.11:                               ;   in Loop: Header=BB0_8 Depth=1
	s_and_not1_b32 s0, s17, exec_lo
	s_and_b32 s1, s11, exec_lo
	s_delay_alu instid0(SALU_CYCLE_1)
	s_or_b32 s17, s0, s1
.LBB0_12:                               ;   in Loop: Header=BB0_8 Depth=1
	s_mul_u64 s[0:1], s[12:13], s[4:5]
	s_delay_alu instid0(SALU_CYCLE_1) | instskip(NEXT) | instid1(SALU_CYCLE_1)
	s_lshl_b64 s[0:1], s[0:1], 2
	s_add_nc_u64 s[2:3], s[6:7], s[0:1]
	s_mul_u64 s[0:1], s[18:19], s[4:5]
	v_lshl_add_u64 v[8:9], v[0:1], 2, s[2:3]
	s_lshl_b64 s[0:1], s[0:1], 2
	s_delay_alu instid0(SALU_CYCLE_1)
	s_add_nc_u64 s[0:1], s[8:9], s[0:1]
	s_and_saveexec_b32 s20, s17
	s_cbranch_execz .LBB0_14
; %bb.13:                               ;   in Loop: Header=BB0_8 Depth=1
	v_lshl_add_u64 v[10:11], v[2:3], 2, s[2:3]
	v_lshl_add_u64 v[12:13], v[6:7], 2, s[0:1]
	s_clause 0x1
	global_load_b32 v14, v[10:11], off
	global_load_b32 v15, v[8:9], off
	;; [unrolled: 1-line block ×3, first 2 shown]
	s_wait_loadcnt 0x2
	s_wait_xcnt 0x2
	v_mul_f32_e32 v10, s22, v14
	s_wait_loadcnt 0x0
	s_delay_alu instid0(VALU_DEP_1)
	v_fmac_f32_e32 v16, v10, v15
	global_store_b32 v[12:13], v16, off
.LBB0_14:                               ;   in Loop: Header=BB0_8 Depth=1
	s_wait_xcnt 0x0
	s_or_b32 exec_lo, exec_lo, s20
	s_delay_alu instid0(SALU_CYCLE_1)
	s_and_not1_b32 vcc_lo, exec_lo, s16
	s_cbranch_vccnz .LBB0_19
; %bb.15:                               ;   in Loop: Header=BB0_8 Depth=1
	s_and_b32 s17, s14, exec_lo
	s_cbranch_execnz .LBB0_17
.LBB0_16:                               ;   in Loop: Header=BB0_8 Depth=1
	s_and_not1_b32 s17, s17, exec_lo
	s_and_b32 s20, s15, exec_lo
	s_delay_alu instid0(SALU_CYCLE_1)
	s_or_b32 s17, s17, s20
.LBB0_17:                               ;   in Loop: Header=BB0_8 Depth=1
	s_delay_alu instid0(SALU_CYCLE_1)
	s_and_saveexec_b32 s20, s17
	s_cbranch_execz .LBB0_7
; %bb.18:                               ;   in Loop: Header=BB0_8 Depth=1
	v_lshl_add_u64 v[10:11], v[4:5], 2, s[2:3]
	v_lshl_add_u64 v[12:13], v[6:7], 2, s[0:1]
	s_clause 0x1
	global_load_b32 v14, v[10:11], off
	global_load_b32 v15, v[8:9], off
	global_load_b32 v16, v[12:13], off offset:256
	s_wait_loadcnt 0x2
	s_wait_xcnt 0x1
	v_mul_f32_e32 v8, s22, v14
	s_wait_loadcnt 0x0
	s_delay_alu instid0(VALU_DEP_1)
	v_fmac_f32_e32 v16, v8, v15
	global_store_b32 v[12:13], v16, off offset:256
	s_branch .LBB0_7
.LBB0_19:                               ;   in Loop: Header=BB0_8 Depth=1
	s_mov_b32 s17, 0
	s_branch .LBB0_16
.LBB0_20:
	s_endpgm
	.section	.rodata,"a",@progbits
	.p2align	6, 0x0
	.amdhsa_kernel _ZL18rocblas_spr_kernelILi64ELi16ELi2E24rocblas_internal_val_ptrIfEPKfPfEvbbiT2_T3_lllT4_lli
		.amdhsa_group_segment_fixed_size 0
		.amdhsa_private_segment_fixed_size 0
		.amdhsa_kernarg_size 76
		.amdhsa_user_sgpr_count 2
		.amdhsa_user_sgpr_dispatch_ptr 0
		.amdhsa_user_sgpr_queue_ptr 0
		.amdhsa_user_sgpr_kernarg_segment_ptr 1
		.amdhsa_user_sgpr_dispatch_id 0
		.amdhsa_user_sgpr_kernarg_preload_length 0
		.amdhsa_user_sgpr_kernarg_preload_offset 0
		.amdhsa_user_sgpr_private_segment_size 0
		.amdhsa_wavefront_size32 1
		.amdhsa_uses_dynamic_stack 0
		.amdhsa_enable_private_segment 0
		.amdhsa_system_sgpr_workgroup_id_x 1
		.amdhsa_system_sgpr_workgroup_id_y 1
		.amdhsa_system_sgpr_workgroup_id_z 1
		.amdhsa_system_sgpr_workgroup_info 0
		.amdhsa_system_vgpr_workitem_id 1
		.amdhsa_next_free_vgpr 17
		.amdhsa_next_free_sgpr 26
		.amdhsa_named_barrier_count 0
		.amdhsa_reserve_vcc 1
		.amdhsa_float_round_mode_32 0
		.amdhsa_float_round_mode_16_64 0
		.amdhsa_float_denorm_mode_32 3
		.amdhsa_float_denorm_mode_16_64 3
		.amdhsa_fp16_overflow 0
		.amdhsa_memory_ordered 1
		.amdhsa_forward_progress 1
		.amdhsa_inst_pref_size 7
		.amdhsa_round_robin_scheduling 0
		.amdhsa_exception_fp_ieee_invalid_op 0
		.amdhsa_exception_fp_denorm_src 0
		.amdhsa_exception_fp_ieee_div_zero 0
		.amdhsa_exception_fp_ieee_overflow 0
		.amdhsa_exception_fp_ieee_underflow 0
		.amdhsa_exception_fp_ieee_inexact 0
		.amdhsa_exception_int_div_zero 0
	.end_amdhsa_kernel
	.section	.text._ZL18rocblas_spr_kernelILi64ELi16ELi2E24rocblas_internal_val_ptrIfEPKfPfEvbbiT2_T3_lllT4_lli,"axG",@progbits,_ZL18rocblas_spr_kernelILi64ELi16ELi2E24rocblas_internal_val_ptrIfEPKfPfEvbbiT2_T3_lllT4_lli,comdat
.Lfunc_end0:
	.size	_ZL18rocblas_spr_kernelILi64ELi16ELi2E24rocblas_internal_val_ptrIfEPKfPfEvbbiT2_T3_lllT4_lli, .Lfunc_end0-_ZL18rocblas_spr_kernelILi64ELi16ELi2E24rocblas_internal_val_ptrIfEPKfPfEvbbiT2_T3_lllT4_lli
                                        ; -- End function
	.set _ZL18rocblas_spr_kernelILi64ELi16ELi2E24rocblas_internal_val_ptrIfEPKfPfEvbbiT2_T3_lllT4_lli.num_vgpr, 17
	.set _ZL18rocblas_spr_kernelILi64ELi16ELi2E24rocblas_internal_val_ptrIfEPKfPfEvbbiT2_T3_lllT4_lli.num_agpr, 0
	.set _ZL18rocblas_spr_kernelILi64ELi16ELi2E24rocblas_internal_val_ptrIfEPKfPfEvbbiT2_T3_lllT4_lli.numbered_sgpr, 26
	.set _ZL18rocblas_spr_kernelILi64ELi16ELi2E24rocblas_internal_val_ptrIfEPKfPfEvbbiT2_T3_lllT4_lli.num_named_barrier, 0
	.set _ZL18rocblas_spr_kernelILi64ELi16ELi2E24rocblas_internal_val_ptrIfEPKfPfEvbbiT2_T3_lllT4_lli.private_seg_size, 0
	.set _ZL18rocblas_spr_kernelILi64ELi16ELi2E24rocblas_internal_val_ptrIfEPKfPfEvbbiT2_T3_lllT4_lli.uses_vcc, 1
	.set _ZL18rocblas_spr_kernelILi64ELi16ELi2E24rocblas_internal_val_ptrIfEPKfPfEvbbiT2_T3_lllT4_lli.uses_flat_scratch, 0
	.set _ZL18rocblas_spr_kernelILi64ELi16ELi2E24rocblas_internal_val_ptrIfEPKfPfEvbbiT2_T3_lllT4_lli.has_dyn_sized_stack, 0
	.set _ZL18rocblas_spr_kernelILi64ELi16ELi2E24rocblas_internal_val_ptrIfEPKfPfEvbbiT2_T3_lllT4_lli.has_recursion, 0
	.set _ZL18rocblas_spr_kernelILi64ELi16ELi2E24rocblas_internal_val_ptrIfEPKfPfEvbbiT2_T3_lllT4_lli.has_indirect_call, 0
	.section	.AMDGPU.csdata,"",@progbits
; Kernel info:
; codeLenInByte = 880
; TotalNumSgprs: 28
; NumVgprs: 17
; ScratchSize: 0
; MemoryBound: 0
; FloatMode: 240
; IeeeMode: 1
; LDSByteSize: 0 bytes/workgroup (compile time only)
; SGPRBlocks: 0
; VGPRBlocks: 1
; NumSGPRsForWavesPerEU: 28
; NumVGPRsForWavesPerEU: 17
; NamedBarCnt: 0
; Occupancy: 16
; WaveLimiterHint : 0
; COMPUTE_PGM_RSRC2:SCRATCH_EN: 0
; COMPUTE_PGM_RSRC2:USER_SGPR: 2
; COMPUTE_PGM_RSRC2:TRAP_HANDLER: 0
; COMPUTE_PGM_RSRC2:TGID_X_EN: 1
; COMPUTE_PGM_RSRC2:TGID_Y_EN: 1
; COMPUTE_PGM_RSRC2:TGID_Z_EN: 1
; COMPUTE_PGM_RSRC2:TIDIG_COMP_CNT: 1
	.section	.text._ZL18rocblas_spr_kernelILi64ELi16ELi2E24rocblas_internal_val_ptrIdEPKdPdEvbbiT2_T3_lllT4_lli,"axG",@progbits,_ZL18rocblas_spr_kernelILi64ELi16ELi2E24rocblas_internal_val_ptrIdEPKdPdEvbbiT2_T3_lllT4_lli,comdat
	.globl	_ZL18rocblas_spr_kernelILi64ELi16ELi2E24rocblas_internal_val_ptrIdEPKdPdEvbbiT2_T3_lllT4_lli ; -- Begin function _ZL18rocblas_spr_kernelILi64ELi16ELi2E24rocblas_internal_val_ptrIdEPKdPdEvbbiT2_T3_lllT4_lli
	.p2align	8
	.type	_ZL18rocblas_spr_kernelILi64ELi16ELi2E24rocblas_internal_val_ptrIdEPKdPdEvbbiT2_T3_lllT4_lli,@function
_ZL18rocblas_spr_kernelILi64ELi16ELi2E24rocblas_internal_val_ptrIdEPKdPdEvbbiT2_T3_lllT4_lli: ; @_ZL18rocblas_spr_kernelILi64ELi16ELi2E24rocblas_internal_val_ptrIdEPKdPdEvbbiT2_T3_lllT4_lli
; %bb.0:
	s_clause 0x1
	s_load_b32 s2, s[0:1], 0x0
	s_load_b512 s[4:19], s[0:1], 0x8
	s_wait_kmcnt 0x0
	s_bitcmp1_b32 s2, 0
	v_mov_b64_e32 v[2:3], s[4:5]
	s_cselect_b32 s2, -1, 0
	s_delay_alu instid0(SALU_CYCLE_1)
	s_and_b32 vcc_lo, exec_lo, s2
	s_cbranch_vccnz .LBB1_2
; %bb.1:
	v_mov_b32_e32 v1, 0
	flat_load_b64 v[2:3], v1, s[4:5]
.LBB1_2:
	s_mov_b32 s2, exec_lo
	s_wait_loadcnt_dscnt 0x0
	s_delay_alu instid0(VALU_DEP_1)
	v_cmpx_neq_f64_e32 0, v[2:3]
	s_cbranch_execz .LBB1_18
; %bb.3:
	s_load_b32 s22, s[0:1], 0x48
	s_bfe_u32 s2, ttmp6, 0x40014
	s_lshr_b32 s3, ttmp7, 16
	s_add_co_i32 s2, s2, 1
	s_bfe_u32 s5, ttmp6, 0x40008
	s_mul_i32 s4, s3, s2
	s_getreg_b32 s2, hwreg(HW_REG_IB_STS2, 6, 4)
	s_add_co_i32 s5, s5, s4
	s_cmp_eq_u32 s2, 0
	s_cselect_b32 s4, s3, s5
	s_mov_b32 s5, 0
	s_wait_kmcnt 0x0
	s_cmp_ge_u32 s4, s22
	s_cbranch_scc1 .LBB1_18
; %bb.4:
	s_load_b64 s[20:21], s[0:1], 0x0
	s_wait_xcnt 0x0
	s_lshl_b64 s[0:1], s[16:17], 3
	s_lshl_b64 s[24:25], s[8:9], 3
	v_bfe_u32 v1, v0, 10, 10
	v_and_b32_e32 v0, 0x3ff, v0
	s_add_nc_u64 s[6:7], s[6:7], s[24:25]
	s_wait_kmcnt 0x0
	s_bitcmp1_b32 s20, 8
	s_cselect_b32 vcc_lo, -1, 0
	s_bfe_u32 s8, ttmp6, 0x40010
	s_bfe_u32 s20, ttmp6, 0x4000c
	s_and_b32 s3, ttmp7, 0xffff
	s_add_co_i32 s8, s8, 1
	s_add_co_i32 s20, s20, 1
	s_bfe_u32 s9, ttmp6, 0x40004
	s_and_b32 s17, ttmp6, 15
	s_mul_i32 s8, s3, s8
	s_mul_i32 s20, ttmp9, s20
	s_xor_b32 s16, vcc_lo, -1
	s_add_co_i32 s9, s9, s8
	s_add_co_i32 s17, s17, s20
	s_cmp_eq_u32 s2, 0
	s_cselect_b32 s2, s3, s9
	s_add_nc_u64 s[8:9], s[14:15], s[0:1]
	v_lshl_add_u32 v10, s2, 4, v1
	s_cselect_b32 s2, ttmp9, s17
	s_lshl_b32 s3, s21, 1
	v_lshl_add_u32 v8, s2, 7, v0
	s_delay_alu instid0(VALU_DEP_2) | instskip(SKIP_1) | instid1(VALU_DEP_3)
	v_sub_nc_u32_e32 v0, s3, v10
	v_mad_u32 v14, v10, v10, v10
	v_dual_ashrrev_i32 v11, 31, v10 :: v_dual_ashrrev_i32 v9, 31, v8
	v_add_nc_u32_e32 v12, 64, v8
	s_delay_alu instid0(VALU_DEP_4) | instskip(SKIP_1) | instid1(VALU_DEP_4)
	v_mad_u32 v15, v10, v0, v10
	v_cmp_gt_i32_e64 s0, s21, v8
	v_mul_u64_e32 v[0:1], s[10:11], v[10:11]
	v_mul_u64_e32 v[4:5], s[10:11], v[8:9]
	v_ashrrev_i32_e32 v13, 31, v12
	v_cmp_ge_i32_e64 s1, v8, v10
	v_cmp_le_i32_e64 s3, v8, v10
	v_lshrrev_b32_e32 v9, 31, v14
	v_cmp_gt_i32_e64 s2, s21, v10
	v_mul_u64_e32 v[6:7], s[10:11], v[12:13]
	v_dual_sub_nc_u32 v13, v8, v10 :: v_dual_lshrrev_b32 v11, 31, v15
	s_delay_alu instid0(VALU_DEP_4) | instskip(SKIP_3) | instid1(VALU_DEP_3)
	v_add_nc_u32_e32 v9, v14, v9
	s_and_b32 s10, s1, s0
	v_cmp_le_i32_e64 s0, v10, v12
	v_cmp_le_i32_e64 s1, v12, v10
	v_dual_add_nc_u32 v11, v15, v11 :: v_dual_ashrrev_i32 v9, 1, v9
	s_and_b32 s3, s3, s2
	s_and_b32 s2, s2, s1
	s_delay_alu instid0(VALU_DEP_1) | instskip(NEXT) | instid1(VALU_DEP_1)
	v_dual_ashrrev_i32 v11, 1, v11 :: v_dual_add_nc_u32 v9, v9, v8
	v_add_nc_u32_e32 v11, v13, v11
	s_delay_alu instid0(VALU_DEP_1) | instskip(SKIP_1) | instid1(VALU_DEP_2)
	v_cndmask_b32_e32 v8, v11, v9, vcc_lo
	v_cmp_gt_i32_e32 vcc_lo, s21, v12
	v_ashrrev_i32_e32 v9, 31, v8
	s_and_b32 s11, s0, vcc_lo
	s_branch .LBB1_6
.LBB1_5:                                ;   in Loop: Header=BB1_6 Depth=1
	s_wait_xcnt 0x0
	s_or_b32 exec_lo, exec_lo, s15
	s_add_co_i32 s4, s4, 0x10000
	s_delay_alu instid0(SALU_CYCLE_1)
	s_cmp_lt_u32 s4, s22
	s_cbranch_scc0 .LBB1_18
.LBB1_6:                                ; =>This Inner Loop Header: Depth=1
	s_mov_b32 s14, 0
	s_and_b32 vcc_lo, exec_lo, s16
	s_mov_b32 s0, -1
	s_cbranch_vccz .LBB1_8
; %bb.7:                                ;   in Loop: Header=BB1_6 Depth=1
	s_mov_b32 s0, 0
	s_and_b32 s14, s10, exec_lo
.LBB1_8:                                ;   in Loop: Header=BB1_6 Depth=1
	s_and_not1_b32 vcc_lo, exec_lo, s0
	s_cbranch_vccnz .LBB1_10
; %bb.9:                                ;   in Loop: Header=BB1_6 Depth=1
	s_and_not1_b32 s0, s14, exec_lo
	s_and_b32 s1, s3, exec_lo
	s_delay_alu instid0(SALU_CYCLE_1)
	s_or_b32 s14, s0, s1
.LBB1_10:                               ;   in Loop: Header=BB1_6 Depth=1
	s_mul_u64 s[0:1], s[12:13], s[4:5]
	s_mul_u64 s[20:21], s[18:19], s[4:5]
	s_lshl_b64 s[0:1], s[0:1], 3
	s_lshl_b64 s[20:21], s[20:21], 3
	s_add_nc_u64 s[0:1], s[6:7], s[0:1]
	s_add_nc_u64 s[20:21], s[8:9], s[20:21]
	v_lshl_add_u64 v[12:13], v[0:1], 3, s[0:1]
	v_lshl_add_u64 v[10:11], v[8:9], 3, s[20:21]
	s_and_saveexec_b32 s15, s14
	s_cbranch_execz .LBB1_12
; %bb.11:                               ;   in Loop: Header=BB1_6 Depth=1
	v_lshl_add_u64 v[14:15], v[4:5], 3, s[0:1]
	s_clause 0x1
	global_load_b64 v[16:17], v[14:15], off
	global_load_b64 v[18:19], v[12:13], off
	;; [unrolled: 1-line block ×3, first 2 shown]
	s_wait_loadcnt 0x2
	s_wait_xcnt 0x2
	v_mul_f64_e32 v[14:15], v[2:3], v[16:17]
	s_wait_loadcnt 0x0
	s_delay_alu instid0(VALU_DEP_1)
	v_fmac_f64_e32 v[20:21], v[14:15], v[18:19]
	global_store_b64 v[10:11], v[20:21], off
.LBB1_12:                               ;   in Loop: Header=BB1_6 Depth=1
	s_wait_xcnt 0x0
	s_or_b32 exec_lo, exec_lo, s15
	s_delay_alu instid0(SALU_CYCLE_1)
	s_and_not1_b32 vcc_lo, exec_lo, s16
	s_cbranch_vccnz .LBB1_14
; %bb.13:                               ;   in Loop: Header=BB1_6 Depth=1
	s_and_b32 s14, s11, exec_lo
	s_cbranch_execz .LBB1_15
	s_branch .LBB1_16
.LBB1_14:                               ;   in Loop: Header=BB1_6 Depth=1
	s_mov_b32 s14, 0
.LBB1_15:                               ;   in Loop: Header=BB1_6 Depth=1
	s_delay_alu instid0(SALU_CYCLE_1) | instskip(SKIP_1) | instid1(SALU_CYCLE_1)
	s_and_not1_b32 s14, s14, exec_lo
	s_and_b32 s15, s2, exec_lo
	s_or_b32 s14, s14, s15
.LBB1_16:                               ;   in Loop: Header=BB1_6 Depth=1
	s_delay_alu instid0(SALU_CYCLE_1)
	s_and_saveexec_b32 s15, s14
	s_cbranch_execz .LBB1_5
; %bb.17:                               ;   in Loop: Header=BB1_6 Depth=1
	v_lshl_add_u64 v[14:15], v[6:7], 3, s[0:1]
	s_clause 0x1
	global_load_b64 v[16:17], v[14:15], off
	global_load_b64 v[18:19], v[12:13], off
	global_load_b64 v[20:21], v[10:11], off offset:512
	s_wait_loadcnt 0x2
	s_wait_xcnt 0x1
	v_mul_f64_e32 v[12:13], v[2:3], v[16:17]
	s_wait_loadcnt 0x0
	s_delay_alu instid0(VALU_DEP_1)
	v_fmac_f64_e32 v[20:21], v[12:13], v[18:19]
	global_store_b64 v[10:11], v[20:21], off offset:512
	s_branch .LBB1_5
.LBB1_18:
	s_endpgm
	.section	.rodata,"a",@progbits
	.p2align	6, 0x0
	.amdhsa_kernel _ZL18rocblas_spr_kernelILi64ELi16ELi2E24rocblas_internal_val_ptrIdEPKdPdEvbbiT2_T3_lllT4_lli
		.amdhsa_group_segment_fixed_size 0
		.amdhsa_private_segment_fixed_size 0
		.amdhsa_kernarg_size 76
		.amdhsa_user_sgpr_count 2
		.amdhsa_user_sgpr_dispatch_ptr 0
		.amdhsa_user_sgpr_queue_ptr 0
		.amdhsa_user_sgpr_kernarg_segment_ptr 1
		.amdhsa_user_sgpr_dispatch_id 0
		.amdhsa_user_sgpr_kernarg_preload_length 0
		.amdhsa_user_sgpr_kernarg_preload_offset 0
		.amdhsa_user_sgpr_private_segment_size 0
		.amdhsa_wavefront_size32 1
		.amdhsa_uses_dynamic_stack 0
		.amdhsa_enable_private_segment 0
		.amdhsa_system_sgpr_workgroup_id_x 1
		.amdhsa_system_sgpr_workgroup_id_y 1
		.amdhsa_system_sgpr_workgroup_id_z 1
		.amdhsa_system_sgpr_workgroup_info 0
		.amdhsa_system_vgpr_workitem_id 1
		.amdhsa_next_free_vgpr 22
		.amdhsa_next_free_sgpr 26
		.amdhsa_named_barrier_count 0
		.amdhsa_reserve_vcc 1
		.amdhsa_float_round_mode_32 0
		.amdhsa_float_round_mode_16_64 0
		.amdhsa_float_denorm_mode_32 3
		.amdhsa_float_denorm_mode_16_64 3
		.amdhsa_fp16_overflow 0
		.amdhsa_memory_ordered 1
		.amdhsa_forward_progress 1
		.amdhsa_inst_pref_size 7
		.amdhsa_round_robin_scheduling 0
		.amdhsa_exception_fp_ieee_invalid_op 0
		.amdhsa_exception_fp_denorm_src 0
		.amdhsa_exception_fp_ieee_div_zero 0
		.amdhsa_exception_fp_ieee_overflow 0
		.amdhsa_exception_fp_ieee_underflow 0
		.amdhsa_exception_fp_ieee_inexact 0
		.amdhsa_exception_int_div_zero 0
	.end_amdhsa_kernel
	.section	.text._ZL18rocblas_spr_kernelILi64ELi16ELi2E24rocblas_internal_val_ptrIdEPKdPdEvbbiT2_T3_lllT4_lli,"axG",@progbits,_ZL18rocblas_spr_kernelILi64ELi16ELi2E24rocblas_internal_val_ptrIdEPKdPdEvbbiT2_T3_lllT4_lli,comdat
.Lfunc_end1:
	.size	_ZL18rocblas_spr_kernelILi64ELi16ELi2E24rocblas_internal_val_ptrIdEPKdPdEvbbiT2_T3_lllT4_lli, .Lfunc_end1-_ZL18rocblas_spr_kernelILi64ELi16ELi2E24rocblas_internal_val_ptrIdEPKdPdEvbbiT2_T3_lllT4_lli
                                        ; -- End function
	.set _ZL18rocblas_spr_kernelILi64ELi16ELi2E24rocblas_internal_val_ptrIdEPKdPdEvbbiT2_T3_lllT4_lli.num_vgpr, 22
	.set _ZL18rocblas_spr_kernelILi64ELi16ELi2E24rocblas_internal_val_ptrIdEPKdPdEvbbiT2_T3_lllT4_lli.num_agpr, 0
	.set _ZL18rocblas_spr_kernelILi64ELi16ELi2E24rocblas_internal_val_ptrIdEPKdPdEvbbiT2_T3_lllT4_lli.numbered_sgpr, 26
	.set _ZL18rocblas_spr_kernelILi64ELi16ELi2E24rocblas_internal_val_ptrIdEPKdPdEvbbiT2_T3_lllT4_lli.num_named_barrier, 0
	.set _ZL18rocblas_spr_kernelILi64ELi16ELi2E24rocblas_internal_val_ptrIdEPKdPdEvbbiT2_T3_lllT4_lli.private_seg_size, 0
	.set _ZL18rocblas_spr_kernelILi64ELi16ELi2E24rocblas_internal_val_ptrIdEPKdPdEvbbiT2_T3_lllT4_lli.uses_vcc, 1
	.set _ZL18rocblas_spr_kernelILi64ELi16ELi2E24rocblas_internal_val_ptrIdEPKdPdEvbbiT2_T3_lllT4_lli.uses_flat_scratch, 0
	.set _ZL18rocblas_spr_kernelILi64ELi16ELi2E24rocblas_internal_val_ptrIdEPKdPdEvbbiT2_T3_lllT4_lli.has_dyn_sized_stack, 0
	.set _ZL18rocblas_spr_kernelILi64ELi16ELi2E24rocblas_internal_val_ptrIdEPKdPdEvbbiT2_T3_lllT4_lli.has_recursion, 0
	.set _ZL18rocblas_spr_kernelILi64ELi16ELi2E24rocblas_internal_val_ptrIdEPKdPdEvbbiT2_T3_lllT4_lli.has_indirect_call, 0
	.section	.AMDGPU.csdata,"",@progbits
; Kernel info:
; codeLenInByte = 868
; TotalNumSgprs: 28
; NumVgprs: 22
; ScratchSize: 0
; MemoryBound: 1
; FloatMode: 240
; IeeeMode: 1
; LDSByteSize: 0 bytes/workgroup (compile time only)
; SGPRBlocks: 0
; VGPRBlocks: 1
; NumSGPRsForWavesPerEU: 28
; NumVGPRsForWavesPerEU: 22
; NamedBarCnt: 0
; Occupancy: 16
; WaveLimiterHint : 0
; COMPUTE_PGM_RSRC2:SCRATCH_EN: 0
; COMPUTE_PGM_RSRC2:USER_SGPR: 2
; COMPUTE_PGM_RSRC2:TRAP_HANDLER: 0
; COMPUTE_PGM_RSRC2:TGID_X_EN: 1
; COMPUTE_PGM_RSRC2:TGID_Y_EN: 1
; COMPUTE_PGM_RSRC2:TGID_Z_EN: 1
; COMPUTE_PGM_RSRC2:TIDIG_COMP_CNT: 1
	.section	.text._ZL18rocblas_spr_kernelILi64ELi16ELi2E24rocblas_internal_val_ptrI19rocblas_complex_numIfEEPKS2_PS2_EvbbiT2_T3_lllT4_lli,"axG",@progbits,_ZL18rocblas_spr_kernelILi64ELi16ELi2E24rocblas_internal_val_ptrI19rocblas_complex_numIfEEPKS2_PS2_EvbbiT2_T3_lllT4_lli,comdat
	.globl	_ZL18rocblas_spr_kernelILi64ELi16ELi2E24rocblas_internal_val_ptrI19rocblas_complex_numIfEEPKS2_PS2_EvbbiT2_T3_lllT4_lli ; -- Begin function _ZL18rocblas_spr_kernelILi64ELi16ELi2E24rocblas_internal_val_ptrI19rocblas_complex_numIfEEPKS2_PS2_EvbbiT2_T3_lllT4_lli
	.p2align	8
	.type	_ZL18rocblas_spr_kernelILi64ELi16ELi2E24rocblas_internal_val_ptrI19rocblas_complex_numIfEEPKS2_PS2_EvbbiT2_T3_lllT4_lli,@function
_ZL18rocblas_spr_kernelILi64ELi16ELi2E24rocblas_internal_val_ptrI19rocblas_complex_numIfEEPKS2_PS2_EvbbiT2_T3_lllT4_lli: ; @_ZL18rocblas_spr_kernelILi64ELi16ELi2E24rocblas_internal_val_ptrI19rocblas_complex_numIfEEPKS2_PS2_EvbbiT2_T3_lllT4_lli
; %bb.0:
	s_clause 0x1
	s_load_b32 s2, s[0:1], 0x0
	s_load_b512 s[4:19], s[0:1], 0x8
	s_wait_kmcnt 0x0
	s_bitcmp0_b32 s2, 0
	s_mov_b32 s2, 0
	s_cbranch_scc0 .LBB2_2
; %bb.1:
	s_load_b64 s[20:21], s[4:5], 0x0
	s_and_not1_b32 vcc_lo, exec_lo, s2
	s_cbranch_vccz .LBB2_3
	s_branch .LBB2_4
.LBB2_2:
                                        ; implicit-def: $sgpr20_sgpr21
.LBB2_3:
	s_wait_kmcnt 0x0
	s_mov_b64 s[20:21], s[4:5]
.LBB2_4:
	s_wait_kmcnt 0x0
	s_cmp_neq_f32 s20, 0
	s_cselect_b32 s2, -1, 0
	s_cmp_neq_f32 s21, 0
	s_cselect_b32 s3, -1, 0
	s_delay_alu instid0(SALU_CYCLE_1) | instskip(NEXT) | instid1(SALU_CYCLE_1)
	s_or_b32 s2, s2, s3
	s_and_not1_b32 vcc_lo, exec_lo, s2
	s_cbranch_vccnz .LBB2_20
; %bb.5:
	s_load_b32 s24, s[0:1], 0x48
	s_bfe_u32 s2, ttmp6, 0x40014
	s_lshr_b32 s3, ttmp7, 16
	s_add_co_i32 s2, s2, 1
	s_bfe_u32 s5, ttmp6, 0x40008
	s_mul_i32 s4, s3, s2
	s_getreg_b32 s2, hwreg(HW_REG_IB_STS2, 6, 4)
	s_add_co_i32 s5, s5, s4
	s_cmp_eq_u32 s2, 0
	s_cselect_b32 s22, s3, s5
	s_wait_kmcnt 0x0
	s_cmp_ge_u32 s22, s24
	s_cbranch_scc1 .LBB2_20
; %bb.6:
	s_load_b64 s[4:5], s[0:1], 0x0
	s_wait_xcnt 0x0
	s_lshl_b64 s[0:1], s[16:17], 3
	s_lshl_b64 s[26:27], s[8:9], 3
	v_bfe_u32 v1, v0, 10, 10
	v_and_b32_e32 v0, 0x3ff, v0
	s_mov_b32 s23, 0
	s_add_nc_u64 s[6:7], s[6:7], s[26:27]
	s_wait_kmcnt 0x0
	s_bitcmp1_b32 s4, 8
	s_cselect_b32 vcc_lo, -1, 0
	s_bfe_u32 s4, ttmp6, 0x40010
	s_bfe_u32 s17, ttmp6, 0x4000c
	s_and_b32 s3, ttmp7, 0xffff
	s_add_co_i32 s4, s4, 1
	s_add_co_i32 s17, s17, 1
	s_bfe_u32 s8, ttmp6, 0x40004
	s_and_b32 s9, ttmp6, 15
	s_mul_i32 s4, s3, s4
	s_mul_i32 s17, ttmp9, s17
	s_xor_b32 s16, vcc_lo, -1
	s_add_co_i32 s8, s8, s4
	s_add_co_i32 s9, s9, s17
	s_cmp_eq_u32 s2, 0
	s_cselect_b32 s2, s3, s8
	s_delay_alu instid0(SALU_CYCLE_1)
	v_lshl_add_u32 v8, s2, 4, v1
	s_cselect_b32 s2, ttmp9, s9
	s_lshl_b32 s3, s5, 1
	v_lshl_add_u32 v6, s2, 7, v0
	s_add_nc_u64 s[8:9], s[14:15], s[0:1]
	v_sub_nc_u32_e32 v0, s3, v8
	v_mad_u32 v12, v8, v8, v8
	s_delay_alu instid0(VALU_DEP_3) | instskip(SKIP_1) | instid1(VALU_DEP_4)
	v_dual_ashrrev_i32 v9, 31, v8 :: v_dual_ashrrev_i32 v7, 31, v6
	v_add_nc_u32_e32 v10, 64, v6
	v_mad_u32 v13, v8, v0, v8
	v_cmp_gt_i32_e64 s1, s5, v6
	s_delay_alu instid0(VALU_DEP_4)
	v_mul_u64_e32 v[0:1], s[10:11], v[8:9]
	v_mul_u64_e32 v[2:3], s[10:11], v[6:7]
	v_ashrrev_i32_e32 v11, 31, v10
	v_cmp_ge_i32_e64 s2, v6, v8
	v_cmp_le_i32_e64 s3, v6, v8
	v_lshrrev_b32_e32 v7, 31, v12
	v_cmp_gt_i32_e64 s0, s5, v8
	v_mul_u64_e32 v[4:5], s[10:11], v[10:11]
	v_dual_sub_nc_u32 v11, v6, v8 :: v_dual_lshrrev_b32 v9, 31, v13
	s_delay_alu instid0(VALU_DEP_4)
	v_add_nc_u32_e32 v7, v12, v7
	v_cmp_gt_i32_e64 s4, s5, v10
	v_cmp_le_i32_e64 s5, v8, v10
	s_and_b32 s10, s2, s1
	v_dual_add_nc_u32 v9, v13, v9 :: v_dual_ashrrev_i32 v7, 1, v7
	s_and_b32 s11, s3, s0
	s_and_b32 s4, s5, s4
	s_mov_b32 s1, s20
	s_delay_alu instid0(VALU_DEP_1) | instskip(NEXT) | instid1(VALU_DEP_1)
	v_dual_ashrrev_i32 v9, 1, v9 :: v_dual_add_nc_u32 v7, v7, v6
	v_add_nc_u32_e32 v9, v11, v9
	s_delay_alu instid0(VALU_DEP_1) | instskip(SKIP_1) | instid1(VALU_DEP_2)
	v_cndmask_b32_e32 v6, v9, v7, vcc_lo
	v_cmp_le_i32_e32 vcc_lo, v10, v8
	v_ashrrev_i32_e32 v7, 31, v6
	s_and_b32 s5, s0, vcc_lo
	s_mov_b32 s0, s21
	s_branch .LBB2_8
.LBB2_7:                                ;   in Loop: Header=BB2_8 Depth=1
	s_wait_xcnt 0x0
	s_or_b32 exec_lo, exec_lo, s14
	s_add_co_i32 s22, s22, 0x10000
	s_delay_alu instid0(SALU_CYCLE_1)
	s_cmp_lt_u32 s22, s24
	s_cbranch_scc0 .LBB2_20
.LBB2_8:                                ; =>This Inner Loop Header: Depth=1
	s_and_b32 vcc_lo, exec_lo, s16
	s_mov_b32 s14, 0
	s_mov_b32 s2, -1
	s_cbranch_vccz .LBB2_10
; %bb.9:                                ;   in Loop: Header=BB2_8 Depth=1
	s_mov_b32 s2, 0
	s_and_b32 s14, s10, exec_lo
.LBB2_10:                               ;   in Loop: Header=BB2_8 Depth=1
	s_and_not1_b32 vcc_lo, exec_lo, s2
	s_cbranch_vccnz .LBB2_12
; %bb.11:                               ;   in Loop: Header=BB2_8 Depth=1
	s_and_not1_b32 s2, s14, exec_lo
	s_and_b32 s3, s11, exec_lo
	s_delay_alu instid0(SALU_CYCLE_1)
	s_or_b32 s14, s2, s3
.LBB2_12:                               ;   in Loop: Header=BB2_8 Depth=1
	s_mul_u64 s[2:3], s[12:13], s[22:23]
	s_mul_u64 s[26:27], s[18:19], s[22:23]
	s_lshl_b64 s[2:3], s[2:3], 3
	s_lshl_b64 s[26:27], s[26:27], 3
	s_add_nc_u64 s[2:3], s[6:7], s[2:3]
	s_add_nc_u64 s[26:27], s[8:9], s[26:27]
	v_lshl_add_u64 v[10:11], v[0:1], 3, s[2:3]
	v_lshl_add_u64 v[8:9], v[6:7], 3, s[26:27]
	s_and_saveexec_b32 s15, s14
	s_cbranch_execz .LBB2_14
; %bb.13:                               ;   in Loop: Header=BB2_8 Depth=1
	v_lshl_add_u64 v[12:13], v[2:3], 3, s[2:3]
	v_mov_b64_e32 v[20:21], s[20:21]
	s_clause 0x1
	global_load_b64 v[14:15], v[12:13], off
	global_load_b64 v[16:17], v[10:11], off
	;; [unrolled: 1-line block ×3, first 2 shown]
	s_wait_xcnt 0x2
	v_mov_b64_e32 v[12:13], s[0:1]
	s_wait_loadcnt 0x2
	s_delay_alu instid0(VALU_DEP_1) | instskip(SKIP_1) | instid1(VALU_DEP_2)
	v_pk_mul_f32 v[12:13], v[12:13], v[14:15]
	v_pk_mul_f32 v[14:15], v[20:21], v[14:15]
	v_add_f32_e32 v12, v12, v13
	s_delay_alu instid0(VALU_DEP_2) | instskip(SKIP_1) | instid1(VALU_DEP_2)
	v_pk_add_f32 v[14:15], v[14:15], v[14:15] op_sel:[0,1] op_sel_hi:[0,1] neg_lo:[0,1] neg_hi:[0,1]
	s_wait_loadcnt 0x1
	v_pk_mul_f32 v[12:13], v[16:17], v[12:13] op_sel:[1,0] op_sel_hi:[0,0]
	s_delay_alu instid0(VALU_DEP_1) | instskip(SKIP_1) | instid1(VALU_DEP_2)
	v_pk_fma_f32 v[20:21], v[16:17], v[14:15], v[12:13]
	v_pk_fma_f32 v[12:13], v[16:17], v[14:15], v[12:13] neg_lo:[0,0,1] neg_hi:[0,0,1]
	v_mov_b32_e32 v13, v21
	s_wait_loadcnt 0x0
	s_delay_alu instid0(VALU_DEP_1)
	v_pk_add_f32 v[12:13], v[18:19], v[12:13]
	global_store_b64 v[8:9], v[12:13], off
.LBB2_14:                               ;   in Loop: Header=BB2_8 Depth=1
	s_wait_xcnt 0x0
	s_or_b32 exec_lo, exec_lo, s15
	s_delay_alu instid0(SALU_CYCLE_1)
	s_and_not1_b32 vcc_lo, exec_lo, s16
	s_cbranch_vccnz .LBB2_16
; %bb.15:                               ;   in Loop: Header=BB2_8 Depth=1
	s_and_b32 s15, s4, exec_lo
	s_cbranch_execz .LBB2_17
	s_branch .LBB2_18
.LBB2_16:                               ;   in Loop: Header=BB2_8 Depth=1
	s_mov_b32 s15, 0
.LBB2_17:                               ;   in Loop: Header=BB2_8 Depth=1
	s_delay_alu instid0(SALU_CYCLE_1) | instskip(SKIP_1) | instid1(SALU_CYCLE_1)
	s_and_not1_b32 s14, s15, exec_lo
	s_and_b32 s15, s5, exec_lo
	s_or_b32 s15, s14, s15
.LBB2_18:                               ;   in Loop: Header=BB2_8 Depth=1
	s_delay_alu instid0(SALU_CYCLE_1)
	s_and_saveexec_b32 s14, s15
	s_cbranch_execz .LBB2_7
; %bb.19:                               ;   in Loop: Header=BB2_8 Depth=1
	v_lshl_add_u64 v[12:13], v[4:5], 3, s[2:3]
	s_clause 0x1
	global_load_b64 v[14:15], v[12:13], off
	global_load_b64 v[16:17], v[10:11], off
	global_load_b64 v[18:19], v[8:9], off offset:512
	s_wait_xcnt 0x1
	v_mov_b64_e32 v[10:11], s[0:1]
	v_mov_b64_e32 v[12:13], s[20:21]
	s_wait_loadcnt 0x2
	s_delay_alu instid0(VALU_DEP_2) | instskip(NEXT) | instid1(VALU_DEP_2)
	v_pk_mul_f32 v[10:11], v[10:11], v[14:15]
	v_pk_mul_f32 v[12:13], v[12:13], v[14:15]
	s_delay_alu instid0(VALU_DEP_2) | instskip(NEXT) | instid1(VALU_DEP_2)
	v_add_f32_e32 v10, v10, v11
	v_pk_add_f32 v[12:13], v[12:13], v[12:13] op_sel:[0,1] op_sel_hi:[0,1] neg_lo:[0,1] neg_hi:[0,1]
	s_wait_loadcnt 0x1
	s_delay_alu instid0(VALU_DEP_2) | instskip(NEXT) | instid1(VALU_DEP_1)
	v_pk_mul_f32 v[10:11], v[16:17], v[10:11] op_sel:[1,0] op_sel_hi:[0,0]
	v_pk_fma_f32 v[14:15], v[16:17], v[12:13], v[10:11]
	v_pk_fma_f32 v[10:11], v[16:17], v[12:13], v[10:11] neg_lo:[0,0,1] neg_hi:[0,0,1]
	s_delay_alu instid0(VALU_DEP_2) | instskip(SKIP_1) | instid1(VALU_DEP_1)
	v_mov_b32_e32 v11, v15
	s_wait_loadcnt 0x0
	v_pk_add_f32 v[10:11], v[18:19], v[10:11]
	global_store_b64 v[8:9], v[10:11], off offset:512
	s_branch .LBB2_7
.LBB2_20:
	s_endpgm
	.section	.rodata,"a",@progbits
	.p2align	6, 0x0
	.amdhsa_kernel _ZL18rocblas_spr_kernelILi64ELi16ELi2E24rocblas_internal_val_ptrI19rocblas_complex_numIfEEPKS2_PS2_EvbbiT2_T3_lllT4_lli
		.amdhsa_group_segment_fixed_size 0
		.amdhsa_private_segment_fixed_size 0
		.amdhsa_kernarg_size 76
		.amdhsa_user_sgpr_count 2
		.amdhsa_user_sgpr_dispatch_ptr 0
		.amdhsa_user_sgpr_queue_ptr 0
		.amdhsa_user_sgpr_kernarg_segment_ptr 1
		.amdhsa_user_sgpr_dispatch_id 0
		.amdhsa_user_sgpr_kernarg_preload_length 0
		.amdhsa_user_sgpr_kernarg_preload_offset 0
		.amdhsa_user_sgpr_private_segment_size 0
		.amdhsa_wavefront_size32 1
		.amdhsa_uses_dynamic_stack 0
		.amdhsa_enable_private_segment 0
		.amdhsa_system_sgpr_workgroup_id_x 1
		.amdhsa_system_sgpr_workgroup_id_y 1
		.amdhsa_system_sgpr_workgroup_id_z 1
		.amdhsa_system_sgpr_workgroup_info 0
		.amdhsa_system_vgpr_workitem_id 1
		.amdhsa_next_free_vgpr 22
		.amdhsa_next_free_sgpr 28
		.amdhsa_named_barrier_count 0
		.amdhsa_reserve_vcc 1
		.amdhsa_float_round_mode_32 0
		.amdhsa_float_round_mode_16_64 0
		.amdhsa_float_denorm_mode_32 3
		.amdhsa_float_denorm_mode_16_64 3
		.amdhsa_fp16_overflow 0
		.amdhsa_memory_ordered 1
		.amdhsa_forward_progress 1
		.amdhsa_inst_pref_size 9
		.amdhsa_round_robin_scheduling 0
		.amdhsa_exception_fp_ieee_invalid_op 0
		.amdhsa_exception_fp_denorm_src 0
		.amdhsa_exception_fp_ieee_div_zero 0
		.amdhsa_exception_fp_ieee_overflow 0
		.amdhsa_exception_fp_ieee_underflow 0
		.amdhsa_exception_fp_ieee_inexact 0
		.amdhsa_exception_int_div_zero 0
	.end_amdhsa_kernel
	.section	.text._ZL18rocblas_spr_kernelILi64ELi16ELi2E24rocblas_internal_val_ptrI19rocblas_complex_numIfEEPKS2_PS2_EvbbiT2_T3_lllT4_lli,"axG",@progbits,_ZL18rocblas_spr_kernelILi64ELi16ELi2E24rocblas_internal_val_ptrI19rocblas_complex_numIfEEPKS2_PS2_EvbbiT2_T3_lllT4_lli,comdat
.Lfunc_end2:
	.size	_ZL18rocblas_spr_kernelILi64ELi16ELi2E24rocblas_internal_val_ptrI19rocblas_complex_numIfEEPKS2_PS2_EvbbiT2_T3_lllT4_lli, .Lfunc_end2-_ZL18rocblas_spr_kernelILi64ELi16ELi2E24rocblas_internal_val_ptrI19rocblas_complex_numIfEEPKS2_PS2_EvbbiT2_T3_lllT4_lli
                                        ; -- End function
	.set _ZL18rocblas_spr_kernelILi64ELi16ELi2E24rocblas_internal_val_ptrI19rocblas_complex_numIfEEPKS2_PS2_EvbbiT2_T3_lllT4_lli.num_vgpr, 22
	.set _ZL18rocblas_spr_kernelILi64ELi16ELi2E24rocblas_internal_val_ptrI19rocblas_complex_numIfEEPKS2_PS2_EvbbiT2_T3_lllT4_lli.num_agpr, 0
	.set _ZL18rocblas_spr_kernelILi64ELi16ELi2E24rocblas_internal_val_ptrI19rocblas_complex_numIfEEPKS2_PS2_EvbbiT2_T3_lllT4_lli.numbered_sgpr, 28
	.set _ZL18rocblas_spr_kernelILi64ELi16ELi2E24rocblas_internal_val_ptrI19rocblas_complex_numIfEEPKS2_PS2_EvbbiT2_T3_lllT4_lli.num_named_barrier, 0
	.set _ZL18rocblas_spr_kernelILi64ELi16ELi2E24rocblas_internal_val_ptrI19rocblas_complex_numIfEEPKS2_PS2_EvbbiT2_T3_lllT4_lli.private_seg_size, 0
	.set _ZL18rocblas_spr_kernelILi64ELi16ELi2E24rocblas_internal_val_ptrI19rocblas_complex_numIfEEPKS2_PS2_EvbbiT2_T3_lllT4_lli.uses_vcc, 1
	.set _ZL18rocblas_spr_kernelILi64ELi16ELi2E24rocblas_internal_val_ptrI19rocblas_complex_numIfEEPKS2_PS2_EvbbiT2_T3_lllT4_lli.uses_flat_scratch, 0
	.set _ZL18rocblas_spr_kernelILi64ELi16ELi2E24rocblas_internal_val_ptrI19rocblas_complex_numIfEEPKS2_PS2_EvbbiT2_T3_lllT4_lli.has_dyn_sized_stack, 0
	.set _ZL18rocblas_spr_kernelILi64ELi16ELi2E24rocblas_internal_val_ptrI19rocblas_complex_numIfEEPKS2_PS2_EvbbiT2_T3_lllT4_lli.has_recursion, 0
	.set _ZL18rocblas_spr_kernelILi64ELi16ELi2E24rocblas_internal_val_ptrI19rocblas_complex_numIfEEPKS2_PS2_EvbbiT2_T3_lllT4_lli.has_indirect_call, 0
	.section	.AMDGPU.csdata,"",@progbits
; Kernel info:
; codeLenInByte = 1056
; TotalNumSgprs: 30
; NumVgprs: 22
; ScratchSize: 0
; MemoryBound: 0
; FloatMode: 240
; IeeeMode: 1
; LDSByteSize: 0 bytes/workgroup (compile time only)
; SGPRBlocks: 0
; VGPRBlocks: 1
; NumSGPRsForWavesPerEU: 30
; NumVGPRsForWavesPerEU: 22
; NamedBarCnt: 0
; Occupancy: 16
; WaveLimiterHint : 0
; COMPUTE_PGM_RSRC2:SCRATCH_EN: 0
; COMPUTE_PGM_RSRC2:USER_SGPR: 2
; COMPUTE_PGM_RSRC2:TRAP_HANDLER: 0
; COMPUTE_PGM_RSRC2:TGID_X_EN: 1
; COMPUTE_PGM_RSRC2:TGID_Y_EN: 1
; COMPUTE_PGM_RSRC2:TGID_Z_EN: 1
; COMPUTE_PGM_RSRC2:TIDIG_COMP_CNT: 1
	.section	.text._ZL18rocblas_spr_kernelILi64ELi16ELi1E24rocblas_internal_val_ptrI19rocblas_complex_numIdEEPKS2_PS2_EvbbiT2_T3_lllT4_lli,"axG",@progbits,_ZL18rocblas_spr_kernelILi64ELi16ELi1E24rocblas_internal_val_ptrI19rocblas_complex_numIdEEPKS2_PS2_EvbbiT2_T3_lllT4_lli,comdat
	.globl	_ZL18rocblas_spr_kernelILi64ELi16ELi1E24rocblas_internal_val_ptrI19rocblas_complex_numIdEEPKS2_PS2_EvbbiT2_T3_lllT4_lli ; -- Begin function _ZL18rocblas_spr_kernelILi64ELi16ELi1E24rocblas_internal_val_ptrI19rocblas_complex_numIdEEPKS2_PS2_EvbbiT2_T3_lllT4_lli
	.p2align	8
	.type	_ZL18rocblas_spr_kernelILi64ELi16ELi1E24rocblas_internal_val_ptrI19rocblas_complex_numIdEEPKS2_PS2_EvbbiT2_T3_lllT4_lli,@function
_ZL18rocblas_spr_kernelILi64ELi16ELi1E24rocblas_internal_val_ptrI19rocblas_complex_numIdEEPKS2_PS2_EvbbiT2_T3_lllT4_lli: ; @_ZL18rocblas_spr_kernelILi64ELi16ELi1E24rocblas_internal_val_ptrI19rocblas_complex_numIdEEPKS2_PS2_EvbbiT2_T3_lllT4_lli
; %bb.0:
	s_clause 0x1
	s_load_b32 s4, s[0:1], 0x0
	s_load_b64 s[2:3], s[0:1], 0x8
	s_wait_kmcnt 0x0
	s_bitcmp0_b32 s4, 0
	s_mov_b32 s4, 0
	s_cbranch_scc0 .LBB3_2
; %bb.1:
	s_load_b128 s[12:15], s[2:3], 0x0
	s_and_not1_b32 vcc_lo, exec_lo, s4
	s_cbranch_vccz .LBB3_3
	s_branch .LBB3_4
.LBB3_2:
                                        ; implicit-def: $sgpr14_sgpr15
.LBB3_3:
	s_wait_kmcnt 0x0
	s_load_b64 s[14:15], s[0:1], 0x10
	s_mov_b64 s[12:13], s[2:3]
.LBB3_4:
	s_wait_kmcnt 0x0
	v_cmp_neq_f64_e64 s2, s[12:13], 0
	v_cmp_neq_f64_e64 s3, s[14:15], 0
	s_or_b32 s2, s2, s3
	s_delay_alu instid0(SALU_CYCLE_1)
	s_and_not1_b32 vcc_lo, exec_lo, s2
	s_cbranch_vccnz .LBB3_14
; %bb.5:
	s_load_b32 s3, s[0:1], 0x50
	s_bfe_u32 s2, ttmp6, 0x40014
	s_lshr_b32 s4, ttmp7, 16
	s_add_co_i32 s2, s2, 1
	s_bfe_u32 s6, ttmp6, 0x40008
	s_mul_i32 s5, s4, s2
	s_getreg_b32 s2, hwreg(HW_REG_IB_STS2, 6, 4)
	s_add_co_i32 s6, s6, s5
	s_cmp_eq_u32 s2, 0
	s_mov_b32 s21, 0
	s_cselect_b32 s20, s4, s6
	s_wait_kmcnt 0x0
	s_cmp_ge_u32 s20, s3
	s_cbranch_scc1 .LBB3_14
; %bb.6:
	s_clause 0x2
	s_load_b256 s[4:11], s[0:1], 0x18
	s_load_b64 s[22:23], s[0:1], 0x0
	s_load_b128 s[16:19], s[0:1], 0x38
	v_bfe_u32 v1, v0, 10, 10
	v_and_b32_e32 v0, 0x3ff, v0
	s_wait_kmcnt 0x0
	s_lshl_b64 s[24:25], s[6:7], 4
	s_bitcmp1_b32 s22, 8
	s_add_nc_u64 s[4:5], s[4:5], s[24:25]
	s_cselect_b32 vcc_lo, -1, 0
	s_bfe_u32 s7, ttmp6, 0x40010
	s_bfe_u32 s28, ttmp6, 0x4000c
	s_and_b32 s6, ttmp7, 0xffff
	s_add_co_i32 s7, s7, 1
	s_add_co_i32 s28, s28, 1
	s_lshl_b64 s[26:27], s[18:19], 4
	s_bfe_u32 s19, ttmp6, 0x40004
	s_and_b32 s22, ttmp6, 15
	s_mul_i32 s7, s6, s7
	s_mul_i32 s28, ttmp9, s28
	s_xor_b32 s18, vcc_lo, -1
	s_add_co_i32 s19, s19, s7
	s_add_co_i32 s22, s22, s28
	s_cmp_eq_u32 s2, 0
	s_cselect_b32 s2, s6, s19
	s_delay_alu instid0(SALU_CYCLE_1) | instskip(SKIP_3) | instid1(VALU_DEP_2)
	v_lshl_add_u32 v4, s2, 4, v1
	s_cselect_b32 s2, ttmp9, s22
	s_lshl_b32 s6, s23, 1
	v_lshl_add_u32 v6, s2, 6, v0
	v_dual_sub_nc_u32 v1, s6, v4 :: v_dual_ashrrev_i32 v5, 31, v4
	v_mad_u32 v9, v4, v4, v4
	s_load_b64 s[6:7], s[0:1], 0x48
	s_wait_xcnt 0x0
	v_cmp_ge_i32_e64 s0, v6, v4
	v_mad_u32 v8, v4, v1, v4
	v_ashrrev_i32_e32 v7, 31, v6
	v_mul_u64_e32 v[0:1], s[8:9], v[4:5]
	v_cmp_gt_i32_e64 s1, s23, v4
	v_cmp_le_i32_e64 s2, v6, v4
	s_and_b32 s1, s2, s1
	v_dual_lshrrev_b32 v10, 31, v8 :: v_dual_lshrrev_b32 v11, 31, v9
	v_mul_u64_e32 v[2:3], s[8:9], v[6:7]
	s_add_nc_u64 s[8:9], s[16:17], s[26:27]
	s_delay_alu instid0(VALU_DEP_2) | instskip(NEXT) | instid1(VALU_DEP_1)
	v_dual_add_nc_u32 v5, v8, v10 :: v_dual_add_nc_u32 v7, v9, v11
	v_dual_sub_nc_u32 v8, v6, v4 :: v_dual_ashrrev_i32 v5, 1, v5
	s_delay_alu instid0(VALU_DEP_1) | instskip(NEXT) | instid1(VALU_DEP_1)
	v_dual_ashrrev_i32 v7, 1, v7 :: v_dual_add_nc_u32 v5, v8, v5
	v_add_nc_u32_e32 v7, v7, v6
	s_delay_alu instid0(VALU_DEP_1) | instskip(SKIP_1) | instid1(VALU_DEP_2)
	v_cndmask_b32_e32 v8, v5, v7, vcc_lo
	v_cmp_gt_i32_e32 vcc_lo, s23, v6
	v_ashrrev_i32_e32 v9, 31, v8
	s_and_b32 s0, s0, vcc_lo
	s_delay_alu instid0(VALU_DEP_1)
	v_lshl_add_u64 v[4:5], v[8:9], 4, s[8:9]
	s_branch .LBB3_8
.LBB3_7:                                ;   in Loop: Header=BB3_8 Depth=1
	s_wait_xcnt 0x0
	s_or_b32 exec_lo, exec_lo, s2
	s_add_co_i32 s20, s20, 0x10000
	s_delay_alu instid0(SALU_CYCLE_1)
	s_cmp_lt_u32 s20, s3
	s_cbranch_scc0 .LBB3_14
.LBB3_8:                                ; =>This Inner Loop Header: Depth=1
	s_mov_b32 s8, 0
	s_and_b32 vcc_lo, exec_lo, s18
	s_mov_b32 s2, -1
	s_cbranch_vccnz .LBB3_11
; %bb.9:                                ;   in Loop: Header=BB3_8 Depth=1
	s_and_not1_b32 vcc_lo, exec_lo, s2
	s_cbranch_vccz .LBB3_12
.LBB3_10:                               ;   in Loop: Header=BB3_8 Depth=1
	s_and_saveexec_b32 s2, s8
	s_cbranch_execz .LBB3_7
	s_branch .LBB3_13
.LBB3_11:                               ;   in Loop: Header=BB3_8 Depth=1
	s_and_b32 s8, s0, exec_lo
	s_cbranch_execnz .LBB3_10
.LBB3_12:                               ;   in Loop: Header=BB3_8 Depth=1
	s_and_not1_b32 s2, s8, exec_lo
	s_and_b32 s8, s1, exec_lo
	s_delay_alu instid0(SALU_CYCLE_1) | instskip(NEXT) | instid1(SALU_CYCLE_1)
	s_or_b32 s8, s2, s8
	s_and_saveexec_b32 s2, s8
	s_cbranch_execz .LBB3_7
.LBB3_13:                               ;   in Loop: Header=BB3_8 Depth=1
	s_mul_u64 s[8:9], s[10:11], s[20:21]
	s_delay_alu instid0(SALU_CYCLE_1) | instskip(NEXT) | instid1(SALU_CYCLE_1)
	s_lshl_b64 s[8:9], s[8:9], 4
	s_add_nc_u64 s[8:9], s[4:5], s[8:9]
	s_delay_alu instid0(SALU_CYCLE_1) | instskip(SKIP_3) | instid1(SALU_CYCLE_1)
	v_lshl_add_u64 v[6:7], v[2:3], 4, s[8:9]
	v_lshl_add_u64 v[10:11], v[0:1], 4, s[8:9]
	s_wait_kmcnt 0x0
	s_mul_u64 s[8:9], s[6:7], s[20:21]
	v_lshl_add_u64 v[18:19], s[8:9], 4, v[4:5]
	s_clause 0x1
	global_load_b128 v[6:9], v[6:7], off
	global_load_b128 v[10:13], v[10:11], off
	;; [unrolled: 1-line block ×3, first 2 shown]
	s_wait_loadcnt 0x2
	v_mul_f64_e32 v[20:21], s[12:13], v[8:9]
	v_mul_f64_e32 v[8:9], s[14:15], v[8:9]
	s_delay_alu instid0(VALU_DEP_2) | instskip(SKIP_1) | instid1(VALU_DEP_2)
	v_fmac_f64_e32 v[20:21], s[14:15], v[6:7]
	s_wait_xcnt 0x2
	v_fma_f64 v[6:7], s[12:13], v[6:7], -v[8:9]
	s_wait_loadcnt 0x1
	s_delay_alu instid0(VALU_DEP_2) | instskip(SKIP_1) | instid1(VALU_DEP_2)
	v_mul_f64_e32 v[8:9], v[12:13], v[20:21]
	v_mul_f64_e32 v[20:21], v[10:11], v[20:21]
	v_fma_f64 v[8:9], v[10:11], v[6:7], -v[8:9]
	s_delay_alu instid0(VALU_DEP_2) | instskip(SKIP_1) | instid1(VALU_DEP_2)
	v_fmac_f64_e32 v[20:21], v[12:13], v[6:7]
	s_wait_loadcnt 0x0
	v_add_f64_e32 v[6:7], v[14:15], v[8:9]
	s_delay_alu instid0(VALU_DEP_2)
	v_add_f64_e32 v[8:9], v[20:21], v[16:17]
	global_store_b128 v[18:19], v[6:9], off
	s_branch .LBB3_7
.LBB3_14:
	s_endpgm
	.section	.rodata,"a",@progbits
	.p2align	6, 0x0
	.amdhsa_kernel _ZL18rocblas_spr_kernelILi64ELi16ELi1E24rocblas_internal_val_ptrI19rocblas_complex_numIdEEPKS2_PS2_EvbbiT2_T3_lllT4_lli
		.amdhsa_group_segment_fixed_size 0
		.amdhsa_private_segment_fixed_size 0
		.amdhsa_kernarg_size 84
		.amdhsa_user_sgpr_count 2
		.amdhsa_user_sgpr_dispatch_ptr 0
		.amdhsa_user_sgpr_queue_ptr 0
		.amdhsa_user_sgpr_kernarg_segment_ptr 1
		.amdhsa_user_sgpr_dispatch_id 0
		.amdhsa_user_sgpr_kernarg_preload_length 0
		.amdhsa_user_sgpr_kernarg_preload_offset 0
		.amdhsa_user_sgpr_private_segment_size 0
		.amdhsa_wavefront_size32 1
		.amdhsa_uses_dynamic_stack 0
		.amdhsa_enable_private_segment 0
		.amdhsa_system_sgpr_workgroup_id_x 1
		.amdhsa_system_sgpr_workgroup_id_y 1
		.amdhsa_system_sgpr_workgroup_id_z 1
		.amdhsa_system_sgpr_workgroup_info 0
		.amdhsa_system_vgpr_workitem_id 1
		.amdhsa_next_free_vgpr 22
		.amdhsa_next_free_sgpr 29
		.amdhsa_named_barrier_count 0
		.amdhsa_reserve_vcc 1
		.amdhsa_float_round_mode_32 0
		.amdhsa_float_round_mode_16_64 0
		.amdhsa_float_denorm_mode_32 3
		.amdhsa_float_denorm_mode_16_64 3
		.amdhsa_fp16_overflow 0
		.amdhsa_memory_ordered 1
		.amdhsa_forward_progress 1
		.amdhsa_inst_pref_size 7
		.amdhsa_round_robin_scheduling 0
		.amdhsa_exception_fp_ieee_invalid_op 0
		.amdhsa_exception_fp_denorm_src 0
		.amdhsa_exception_fp_ieee_div_zero 0
		.amdhsa_exception_fp_ieee_overflow 0
		.amdhsa_exception_fp_ieee_underflow 0
		.amdhsa_exception_fp_ieee_inexact 0
		.amdhsa_exception_int_div_zero 0
	.end_amdhsa_kernel
	.section	.text._ZL18rocblas_spr_kernelILi64ELi16ELi1E24rocblas_internal_val_ptrI19rocblas_complex_numIdEEPKS2_PS2_EvbbiT2_T3_lllT4_lli,"axG",@progbits,_ZL18rocblas_spr_kernelILi64ELi16ELi1E24rocblas_internal_val_ptrI19rocblas_complex_numIdEEPKS2_PS2_EvbbiT2_T3_lllT4_lli,comdat
.Lfunc_end3:
	.size	_ZL18rocblas_spr_kernelILi64ELi16ELi1E24rocblas_internal_val_ptrI19rocblas_complex_numIdEEPKS2_PS2_EvbbiT2_T3_lllT4_lli, .Lfunc_end3-_ZL18rocblas_spr_kernelILi64ELi16ELi1E24rocblas_internal_val_ptrI19rocblas_complex_numIdEEPKS2_PS2_EvbbiT2_T3_lllT4_lli
                                        ; -- End function
	.set _ZL18rocblas_spr_kernelILi64ELi16ELi1E24rocblas_internal_val_ptrI19rocblas_complex_numIdEEPKS2_PS2_EvbbiT2_T3_lllT4_lli.num_vgpr, 22
	.set _ZL18rocblas_spr_kernelILi64ELi16ELi1E24rocblas_internal_val_ptrI19rocblas_complex_numIdEEPKS2_PS2_EvbbiT2_T3_lllT4_lli.num_agpr, 0
	.set _ZL18rocblas_spr_kernelILi64ELi16ELi1E24rocblas_internal_val_ptrI19rocblas_complex_numIdEEPKS2_PS2_EvbbiT2_T3_lllT4_lli.numbered_sgpr, 29
	.set _ZL18rocblas_spr_kernelILi64ELi16ELi1E24rocblas_internal_val_ptrI19rocblas_complex_numIdEEPKS2_PS2_EvbbiT2_T3_lllT4_lli.num_named_barrier, 0
	.set _ZL18rocblas_spr_kernelILi64ELi16ELi1E24rocblas_internal_val_ptrI19rocblas_complex_numIdEEPKS2_PS2_EvbbiT2_T3_lllT4_lli.private_seg_size, 0
	.set _ZL18rocblas_spr_kernelILi64ELi16ELi1E24rocblas_internal_val_ptrI19rocblas_complex_numIdEEPKS2_PS2_EvbbiT2_T3_lllT4_lli.uses_vcc, 1
	.set _ZL18rocblas_spr_kernelILi64ELi16ELi1E24rocblas_internal_val_ptrI19rocblas_complex_numIdEEPKS2_PS2_EvbbiT2_T3_lllT4_lli.uses_flat_scratch, 0
	.set _ZL18rocblas_spr_kernelILi64ELi16ELi1E24rocblas_internal_val_ptrI19rocblas_complex_numIdEEPKS2_PS2_EvbbiT2_T3_lllT4_lli.has_dyn_sized_stack, 0
	.set _ZL18rocblas_spr_kernelILi64ELi16ELi1E24rocblas_internal_val_ptrI19rocblas_complex_numIdEEPKS2_PS2_EvbbiT2_T3_lllT4_lli.has_recursion, 0
	.set _ZL18rocblas_spr_kernelILi64ELi16ELi1E24rocblas_internal_val_ptrI19rocblas_complex_numIdEEPKS2_PS2_EvbbiT2_T3_lllT4_lli.has_indirect_call, 0
	.section	.AMDGPU.csdata,"",@progbits
; Kernel info:
; codeLenInByte = 812
; TotalNumSgprs: 31
; NumVgprs: 22
; ScratchSize: 0
; MemoryBound: 0
; FloatMode: 240
; IeeeMode: 1
; LDSByteSize: 0 bytes/workgroup (compile time only)
; SGPRBlocks: 0
; VGPRBlocks: 1
; NumSGPRsForWavesPerEU: 31
; NumVGPRsForWavesPerEU: 22
; NamedBarCnt: 0
; Occupancy: 16
; WaveLimiterHint : 0
; COMPUTE_PGM_RSRC2:SCRATCH_EN: 0
; COMPUTE_PGM_RSRC2:USER_SGPR: 2
; COMPUTE_PGM_RSRC2:TRAP_HANDLER: 0
; COMPUTE_PGM_RSRC2:TGID_X_EN: 1
; COMPUTE_PGM_RSRC2:TGID_Y_EN: 1
; COMPUTE_PGM_RSRC2:TGID_Z_EN: 1
; COMPUTE_PGM_RSRC2:TIDIG_COMP_CNT: 1
	.section	.text._ZL18rocblas_spr_kernelILi64ELi16ELi2E24rocblas_internal_val_ptrIfEPKPKfPKPfEvbbiT2_T3_lllT4_lli,"axG",@progbits,_ZL18rocblas_spr_kernelILi64ELi16ELi2E24rocblas_internal_val_ptrIfEPKPKfPKPfEvbbiT2_T3_lllT4_lli,comdat
	.globl	_ZL18rocblas_spr_kernelILi64ELi16ELi2E24rocblas_internal_val_ptrIfEPKPKfPKPfEvbbiT2_T3_lllT4_lli ; -- Begin function _ZL18rocblas_spr_kernelILi64ELi16ELi2E24rocblas_internal_val_ptrIfEPKPKfPKPfEvbbiT2_T3_lllT4_lli
	.p2align	8
	.type	_ZL18rocblas_spr_kernelILi64ELi16ELi2E24rocblas_internal_val_ptrIfEPKPKfPKPfEvbbiT2_T3_lllT4_lli,@function
_ZL18rocblas_spr_kernelILi64ELi16ELi2E24rocblas_internal_val_ptrIfEPKPKfPKPfEvbbiT2_T3_lllT4_lli: ; @_ZL18rocblas_spr_kernelILi64ELi16ELi2E24rocblas_internal_val_ptrIfEPKPKfPKPfEvbbiT2_T3_lllT4_lli
; %bb.0:
	s_clause 0x1
	s_load_b32 s2, s[0:1], 0x0
	s_load_b256 s[4:11], s[0:1], 0x8
	s_wait_kmcnt 0x0
	s_bitcmp0_b32 s2, 0
	s_mov_b32 s2, 0
	s_cbranch_scc0 .LBB4_2
; %bb.1:
	s_load_b32 s16, s[4:5], 0x0
	s_and_not1_b32 vcc_lo, exec_lo, s2
	s_cbranch_vccz .LBB4_3
	s_branch .LBB4_4
.LBB4_2:
                                        ; implicit-def: $sgpr16
.LBB4_3:
	s_wait_kmcnt 0x0
	s_mov_b32 s16, s4
.LBB4_4:
	s_wait_kmcnt 0x0
	s_cmp_eq_f32 s16, 0
	s_cbranch_scc1 .LBB4_20
; %bb.5:
	s_load_b32 s17, s[0:1], 0x48
	s_bfe_u32 s2, ttmp6, 0x40014
	s_lshr_b32 s3, ttmp7, 16
	s_add_co_i32 s2, s2, 1
	s_bfe_u32 s5, ttmp6, 0x40008
	s_mul_i32 s4, s3, s2
	s_getreg_b32 s2, hwreg(HW_REG_IB_STS2, 6, 4)
	s_add_co_i32 s5, s5, s4
	s_cmp_eq_u32 s2, 0
	s_cselect_b32 s18, s3, s5
	s_wait_kmcnt 0x0
	s_cmp_ge_u32 s18, s17
	s_cbranch_scc1 .LBB4_20
; %bb.6:
	s_clause 0x1
	s_load_b64 s[4:5], s[0:1], 0x0
	s_load_b128 s[12:15], s[0:1], 0x30
	v_bfe_u32 v1, v0, 10, 10
	v_and_b32_e32 v0, 0x3ff, v0
	s_wait_kmcnt 0x0
	s_bitcmp1_b32 s4, 8
	s_cselect_b32 vcc_lo, -1, 0
	s_bfe_u32 s1, ttmp6, 0x40010
	s_bfe_u32 s20, ttmp6, 0x4000c
	s_and_b32 s0, ttmp7, 0xffff
	s_add_co_i32 s1, s1, 1
	s_add_co_i32 s20, s20, 1
	s_bfe_u32 s3, ttmp6, 0x40004
	s_and_b32 s4, ttmp6, 15
	s_mul_i32 s1, s0, s1
	s_mul_i32 s20, ttmp9, s20
	s_xor_b32 s19, vcc_lo, -1
	s_add_co_i32 s3, s3, s1
	s_add_co_i32 s4, s4, s20
	s_cmp_eq_u32 s2, 0
	s_cselect_b32 s0, s0, s3
	s_delay_alu instid0(SALU_CYCLE_1) | instskip(SKIP_3) | instid1(VALU_DEP_2)
	v_lshl_add_u32 v8, s0, 4, v1
	s_cselect_b32 s0, ttmp9, s4
	s_lshl_b32 s1, s5, 1
	v_lshl_add_u32 v6, s0, 7, v0
	v_sub_nc_u32_e32 v0, s1, v8
	v_mad_u32 v12, v8, v8, v8
	s_delay_alu instid0(VALU_DEP_3) | instskip(SKIP_1) | instid1(VALU_DEP_4)
	v_dual_ashrrev_i32 v9, 31, v8 :: v_dual_ashrrev_i32 v7, 31, v6
	v_add_nc_u32_e32 v10, 64, v6
	v_mad_u32 v13, v8, v0, v8
	v_cmp_gt_i32_e64 s1, s5, v6
	s_delay_alu instid0(VALU_DEP_4)
	v_mul_u64_e32 v[0:1], s[10:11], v[8:9]
	v_mul_u64_e32 v[2:3], s[10:11], v[6:7]
	v_ashrrev_i32_e32 v11, 31, v10
	v_cmp_ge_i32_e64 s2, v6, v8
	v_cmp_le_i32_e64 s3, v6, v8
	v_lshrrev_b32_e32 v7, 31, v12
	v_cmp_gt_i32_e64 s0, s5, v8
	v_mul_u64_e32 v[4:5], s[10:11], v[10:11]
	v_dual_sub_nc_u32 v11, v6, v8 :: v_dual_lshrrev_b32 v9, 31, v13
	s_delay_alu instid0(VALU_DEP_4)
	v_add_nc_u32_e32 v7, v12, v7
	v_cmp_gt_i32_e64 s4, s5, v10
	v_cmp_le_i32_e64 s5, v8, v10
	s_and_b32 s10, s2, s1
	v_dual_add_nc_u32 v9, v13, v9 :: v_dual_ashrrev_i32 v7, 1, v7
	s_and_b32 s11, s3, s0
	s_and_b32 s20, s5, s4
	s_lshl_b64 s[2:3], s[8:9], 2
	s_delay_alu instid0(VALU_DEP_1) | instskip(NEXT) | instid1(VALU_DEP_1)
	v_dual_ashrrev_i32 v9, 1, v9 :: v_dual_add_nc_u32 v7, v7, v6
	v_add_nc_u32_e32 v9, v11, v9
	s_delay_alu instid0(VALU_DEP_1) | instskip(SKIP_1) | instid1(VALU_DEP_2)
	v_cndmask_b32_e32 v6, v9, v7, vcc_lo
	v_cmp_le_i32_e32 vcc_lo, v10, v8
	v_ashrrev_i32_e32 v7, 31, v6
	s_and_b32 s21, s0, vcc_lo
	s_lshl_b64 s[0:1], s[14:15], 2
	s_branch .LBB4_8
.LBB4_7:                                ;   in Loop: Header=BB4_8 Depth=1
	s_wait_xcnt 0x0
	s_or_b32 exec_lo, exec_lo, s15
	s_add_co_i32 s18, s18, 0x10000
	s_delay_alu instid0(SALU_CYCLE_1)
	s_cmp_lt_u32 s18, s17
	s_cbranch_scc0 .LBB4_20
.LBB4_8:                                ; =>This Inner Loop Header: Depth=1
	s_and_b32 vcc_lo, exec_lo, s19
	s_mov_b32 s14, 0
	s_mov_b32 s4, -1
	s_cbranch_vccz .LBB4_10
; %bb.9:                                ;   in Loop: Header=BB4_8 Depth=1
	s_mov_b32 s4, 0
	s_and_b32 s14, s10, exec_lo
.LBB4_10:                               ;   in Loop: Header=BB4_8 Depth=1
	s_and_not1_b32 vcc_lo, exec_lo, s4
	s_cbranch_vccnz .LBB4_12
; %bb.11:                               ;   in Loop: Header=BB4_8 Depth=1
	s_and_not1_b32 s4, s14, exec_lo
	s_and_b32 s5, s11, exec_lo
	s_delay_alu instid0(SALU_CYCLE_1)
	s_or_b32 s14, s4, s5
.LBB4_12:                               ;   in Loop: Header=BB4_8 Depth=1
	s_load_b64 s[4:5], s[6:7], s18 offset:0x0 scale_offset
	s_load_b64 s[22:23], s[12:13], s18 offset:0x0 scale_offset
	s_wait_kmcnt 0x0
	s_add_nc_u64 s[8:9], s[4:5], s[2:3]
	s_add_nc_u64 s[4:5], s[22:23], s[0:1]
	v_lshl_add_u64 v[8:9], v[0:1], 2, s[8:9]
	s_and_saveexec_b32 s15, s14
	s_cbranch_execz .LBB4_14
; %bb.13:                               ;   in Loop: Header=BB4_8 Depth=1
	v_lshl_add_u64 v[10:11], v[2:3], 2, s[8:9]
	v_lshl_add_u64 v[12:13], v[6:7], 2, s[4:5]
	s_clause 0x1
	flat_load_b32 v14, v[10:11]
	flat_load_b32 v15, v[8:9]
	;; [unrolled: 1-line block ×3, first 2 shown]
	s_wait_loadcnt_dscnt 0x202
	s_wait_xcnt 0x2
	v_mul_f32_e32 v10, s16, v14
	s_wait_loadcnt_dscnt 0x0
	s_delay_alu instid0(VALU_DEP_1)
	v_fmac_f32_e32 v16, v10, v15
	flat_store_b32 v[12:13], v16
.LBB4_14:                               ;   in Loop: Header=BB4_8 Depth=1
	s_wait_xcnt 0x0
	s_or_b32 exec_lo, exec_lo, s15
	s_delay_alu instid0(SALU_CYCLE_1)
	s_and_not1_b32 vcc_lo, exec_lo, s19
	s_cbranch_vccnz .LBB4_19
; %bb.15:                               ;   in Loop: Header=BB4_8 Depth=1
	s_and_b32 s14, s20, exec_lo
	s_cbranch_execnz .LBB4_17
.LBB4_16:                               ;   in Loop: Header=BB4_8 Depth=1
	s_and_not1_b32 s14, s14, exec_lo
	s_and_b32 s15, s21, exec_lo
	s_delay_alu instid0(SALU_CYCLE_1)
	s_or_b32 s14, s14, s15
.LBB4_17:                               ;   in Loop: Header=BB4_8 Depth=1
	s_delay_alu instid0(SALU_CYCLE_1)
	s_and_saveexec_b32 s15, s14
	s_cbranch_execz .LBB4_7
; %bb.18:                               ;   in Loop: Header=BB4_8 Depth=1
	v_lshl_add_u64 v[10:11], v[4:5], 2, s[8:9]
	v_lshl_add_u64 v[12:13], v[6:7], 2, s[4:5]
	s_clause 0x1
	flat_load_b32 v14, v[10:11]
	flat_load_b32 v15, v[8:9]
	flat_load_b32 v16, v[12:13] offset:256
	s_wait_loadcnt_dscnt 0x202
	s_wait_xcnt 0x1
	v_mul_f32_e32 v8, s16, v14
	s_wait_loadcnt_dscnt 0x0
	s_delay_alu instid0(VALU_DEP_1)
	v_fmac_f32_e32 v16, v8, v15
	flat_store_b32 v[12:13], v16 offset:256
	s_branch .LBB4_7
.LBB4_19:                               ;   in Loop: Header=BB4_8 Depth=1
	s_mov_b32 s14, 0
	s_branch .LBB4_16
.LBB4_20:
	s_endpgm
	.section	.rodata,"a",@progbits
	.p2align	6, 0x0
	.amdhsa_kernel _ZL18rocblas_spr_kernelILi64ELi16ELi2E24rocblas_internal_val_ptrIfEPKPKfPKPfEvbbiT2_T3_lllT4_lli
		.amdhsa_group_segment_fixed_size 0
		.amdhsa_private_segment_fixed_size 0
		.amdhsa_kernarg_size 76
		.amdhsa_user_sgpr_count 2
		.amdhsa_user_sgpr_dispatch_ptr 0
		.amdhsa_user_sgpr_queue_ptr 0
		.amdhsa_user_sgpr_kernarg_segment_ptr 1
		.amdhsa_user_sgpr_dispatch_id 0
		.amdhsa_user_sgpr_kernarg_preload_length 0
		.amdhsa_user_sgpr_kernarg_preload_offset 0
		.amdhsa_user_sgpr_private_segment_size 0
		.amdhsa_wavefront_size32 1
		.amdhsa_uses_dynamic_stack 0
		.amdhsa_enable_private_segment 0
		.amdhsa_system_sgpr_workgroup_id_x 1
		.amdhsa_system_sgpr_workgroup_id_y 1
		.amdhsa_system_sgpr_workgroup_id_z 1
		.amdhsa_system_sgpr_workgroup_info 0
		.amdhsa_system_vgpr_workitem_id 1
		.amdhsa_next_free_vgpr 17
		.amdhsa_next_free_sgpr 24
		.amdhsa_named_barrier_count 0
		.amdhsa_reserve_vcc 1
		.amdhsa_float_round_mode_32 0
		.amdhsa_float_round_mode_16_64 0
		.amdhsa_float_denorm_mode_32 3
		.amdhsa_float_denorm_mode_16_64 3
		.amdhsa_fp16_overflow 0
		.amdhsa_memory_ordered 1
		.amdhsa_forward_progress 1
		.amdhsa_inst_pref_size 7
		.amdhsa_round_robin_scheduling 0
		.amdhsa_exception_fp_ieee_invalid_op 0
		.amdhsa_exception_fp_denorm_src 0
		.amdhsa_exception_fp_ieee_div_zero 0
		.amdhsa_exception_fp_ieee_overflow 0
		.amdhsa_exception_fp_ieee_underflow 0
		.amdhsa_exception_fp_ieee_inexact 0
		.amdhsa_exception_int_div_zero 0
	.end_amdhsa_kernel
	.section	.text._ZL18rocblas_spr_kernelILi64ELi16ELi2E24rocblas_internal_val_ptrIfEPKPKfPKPfEvbbiT2_T3_lllT4_lli,"axG",@progbits,_ZL18rocblas_spr_kernelILi64ELi16ELi2E24rocblas_internal_val_ptrIfEPKPKfPKPfEvbbiT2_T3_lllT4_lli,comdat
.Lfunc_end4:
	.size	_ZL18rocblas_spr_kernelILi64ELi16ELi2E24rocblas_internal_val_ptrIfEPKPKfPKPfEvbbiT2_T3_lllT4_lli, .Lfunc_end4-_ZL18rocblas_spr_kernelILi64ELi16ELi2E24rocblas_internal_val_ptrIfEPKPKfPKPfEvbbiT2_T3_lllT4_lli
                                        ; -- End function
	.set _ZL18rocblas_spr_kernelILi64ELi16ELi2E24rocblas_internal_val_ptrIfEPKPKfPKPfEvbbiT2_T3_lllT4_lli.num_vgpr, 17
	.set _ZL18rocblas_spr_kernelILi64ELi16ELi2E24rocblas_internal_val_ptrIfEPKPKfPKPfEvbbiT2_T3_lllT4_lli.num_agpr, 0
	.set _ZL18rocblas_spr_kernelILi64ELi16ELi2E24rocblas_internal_val_ptrIfEPKPKfPKPfEvbbiT2_T3_lllT4_lli.numbered_sgpr, 24
	.set _ZL18rocblas_spr_kernelILi64ELi16ELi2E24rocblas_internal_val_ptrIfEPKPKfPKPfEvbbiT2_T3_lllT4_lli.num_named_barrier, 0
	.set _ZL18rocblas_spr_kernelILi64ELi16ELi2E24rocblas_internal_val_ptrIfEPKPKfPKPfEvbbiT2_T3_lllT4_lli.private_seg_size, 0
	.set _ZL18rocblas_spr_kernelILi64ELi16ELi2E24rocblas_internal_val_ptrIfEPKPKfPKPfEvbbiT2_T3_lllT4_lli.uses_vcc, 1
	.set _ZL18rocblas_spr_kernelILi64ELi16ELi2E24rocblas_internal_val_ptrIfEPKPKfPKPfEvbbiT2_T3_lllT4_lli.uses_flat_scratch, 1
	.set _ZL18rocblas_spr_kernelILi64ELi16ELi2E24rocblas_internal_val_ptrIfEPKPKfPKPfEvbbiT2_T3_lllT4_lli.has_dyn_sized_stack, 0
	.set _ZL18rocblas_spr_kernelILi64ELi16ELi2E24rocblas_internal_val_ptrIfEPKPKfPKPfEvbbiT2_T3_lllT4_lli.has_recursion, 0
	.set _ZL18rocblas_spr_kernelILi64ELi16ELi2E24rocblas_internal_val_ptrIfEPKPKfPKPfEvbbiT2_T3_lllT4_lli.has_indirect_call, 0
	.section	.AMDGPU.csdata,"",@progbits
; Kernel info:
; codeLenInByte = 872
; TotalNumSgprs: 26
; NumVgprs: 17
; ScratchSize: 0
; MemoryBound: 0
; FloatMode: 240
; IeeeMode: 1
; LDSByteSize: 0 bytes/workgroup (compile time only)
; SGPRBlocks: 0
; VGPRBlocks: 1
; NumSGPRsForWavesPerEU: 26
; NumVGPRsForWavesPerEU: 17
; NamedBarCnt: 0
; Occupancy: 16
; WaveLimiterHint : 1
; COMPUTE_PGM_RSRC2:SCRATCH_EN: 0
; COMPUTE_PGM_RSRC2:USER_SGPR: 2
; COMPUTE_PGM_RSRC2:TRAP_HANDLER: 0
; COMPUTE_PGM_RSRC2:TGID_X_EN: 1
; COMPUTE_PGM_RSRC2:TGID_Y_EN: 1
; COMPUTE_PGM_RSRC2:TGID_Z_EN: 1
; COMPUTE_PGM_RSRC2:TIDIG_COMP_CNT: 1
	.section	.text._ZL18rocblas_spr_kernelILi64ELi16ELi2E24rocblas_internal_val_ptrIdEPKPKdPKPdEvbbiT2_T3_lllT4_lli,"axG",@progbits,_ZL18rocblas_spr_kernelILi64ELi16ELi2E24rocblas_internal_val_ptrIdEPKPKdPKPdEvbbiT2_T3_lllT4_lli,comdat
	.globl	_ZL18rocblas_spr_kernelILi64ELi16ELi2E24rocblas_internal_val_ptrIdEPKPKdPKPdEvbbiT2_T3_lllT4_lli ; -- Begin function _ZL18rocblas_spr_kernelILi64ELi16ELi2E24rocblas_internal_val_ptrIdEPKPKdPKPdEvbbiT2_T3_lllT4_lli
	.p2align	8
	.type	_ZL18rocblas_spr_kernelILi64ELi16ELi2E24rocblas_internal_val_ptrIdEPKPKdPKPdEvbbiT2_T3_lllT4_lli,@function
_ZL18rocblas_spr_kernelILi64ELi16ELi2E24rocblas_internal_val_ptrIdEPKPKdPKPdEvbbiT2_T3_lllT4_lli: ; @_ZL18rocblas_spr_kernelILi64ELi16ELi2E24rocblas_internal_val_ptrIdEPKPKdPKPdEvbbiT2_T3_lllT4_lli
; %bb.0:
	s_clause 0x1
	s_load_b32 s2, s[0:1], 0x0
	s_load_b256 s[4:11], s[0:1], 0x8
	s_wait_kmcnt 0x0
	s_bitcmp1_b32 s2, 0
	v_mov_b64_e32 v[2:3], s[4:5]
	s_cselect_b32 s2, -1, 0
	s_delay_alu instid0(SALU_CYCLE_1)
	s_and_b32 vcc_lo, exec_lo, s2
	s_cbranch_vccnz .LBB5_2
; %bb.1:
	v_mov_b32_e32 v1, 0
	flat_load_b64 v[2:3], v1, s[4:5]
.LBB5_2:
	s_mov_b32 s2, exec_lo
	s_wait_loadcnt_dscnt 0x0
	s_delay_alu instid0(VALU_DEP_1)
	v_cmpx_neq_f64_e32 0, v[2:3]
	s_cbranch_execz .LBB5_18
; %bb.3:
	s_load_b32 s16, s[0:1], 0x48
	s_bfe_u32 s2, ttmp6, 0x40014
	s_lshr_b32 s3, ttmp7, 16
	s_add_co_i32 s2, s2, 1
	s_bfe_u32 s5, ttmp6, 0x40008
	s_mul_i32 s4, s3, s2
	s_getreg_b32 s2, hwreg(HW_REG_IB_STS2, 6, 4)
	s_add_co_i32 s5, s5, s4
	s_cmp_eq_u32 s2, 0
	s_cselect_b32 s17, s3, s5
	s_wait_kmcnt 0x0
	s_cmp_ge_u32 s17, s16
	s_cbranch_scc1 .LBB5_18
; %bb.4:
	s_clause 0x1
	s_load_b64 s[4:5], s[0:1], 0x0
	s_load_b128 s[12:15], s[0:1], 0x30
	v_bfe_u32 v1, v0, 10, 10
	v_and_b32_e32 v0, 0x3ff, v0
	s_wait_kmcnt 0x0
	s_bitcmp1_b32 s4, 8
	s_cselect_b32 vcc_lo, -1, 0
	s_bfe_u32 s1, ttmp6, 0x40010
	s_bfe_u32 s19, ttmp6, 0x4000c
	s_and_b32 s0, ttmp7, 0xffff
	s_add_co_i32 s1, s1, 1
	s_add_co_i32 s19, s19, 1
	s_bfe_u32 s3, ttmp6, 0x40004
	s_and_b32 s4, ttmp6, 15
	s_mul_i32 s1, s0, s1
	s_mul_i32 s19, ttmp9, s19
	s_xor_b32 s18, vcc_lo, -1
	s_add_co_i32 s3, s3, s1
	s_add_co_i32 s4, s4, s19
	s_cmp_eq_u32 s2, 0
	s_cselect_b32 s0, s0, s3
	s_delay_alu instid0(SALU_CYCLE_1) | instskip(SKIP_3) | instid1(VALU_DEP_2)
	v_lshl_add_u32 v10, s0, 4, v1
	s_cselect_b32 s0, ttmp9, s4
	s_lshl_b32 s1, s5, 1
	v_lshl_add_u32 v8, s0, 7, v0
	v_sub_nc_u32_e32 v0, s1, v10
	v_mad_u32 v14, v10, v10, v10
	s_delay_alu instid0(VALU_DEP_3) | instskip(SKIP_1) | instid1(VALU_DEP_4)
	v_dual_ashrrev_i32 v11, 31, v10 :: v_dual_ashrrev_i32 v9, 31, v8
	v_add_nc_u32_e32 v12, 64, v8
	v_mad_u32 v15, v10, v0, v10
	v_cmp_gt_i32_e64 s1, s5, v8
	s_delay_alu instid0(VALU_DEP_4)
	v_mul_u64_e32 v[0:1], s[10:11], v[10:11]
	v_mul_u64_e32 v[4:5], s[10:11], v[8:9]
	v_ashrrev_i32_e32 v13, 31, v12
	v_cmp_ge_i32_e64 s2, v8, v10
	v_cmp_le_i32_e64 s3, v8, v10
	v_lshrrev_b32_e32 v9, 31, v14
	v_cmp_gt_i32_e64 s0, s5, v10
	v_mul_u64_e32 v[6:7], s[10:11], v[12:13]
	v_dual_sub_nc_u32 v13, v8, v10 :: v_dual_lshrrev_b32 v11, 31, v15
	s_delay_alu instid0(VALU_DEP_4)
	v_add_nc_u32_e32 v9, v14, v9
	v_cmp_gt_i32_e64 s4, s5, v12
	v_cmp_le_i32_e64 s5, v10, v12
	s_and_b32 s10, s2, s1
	v_dual_add_nc_u32 v11, v15, v11 :: v_dual_ashrrev_i32 v9, 1, v9
	s_and_b32 s11, s3, s0
	s_and_b32 s19, s5, s4
	s_lshl_b64 s[2:3], s[8:9], 3
	s_delay_alu instid0(VALU_DEP_1) | instskip(NEXT) | instid1(VALU_DEP_1)
	v_dual_ashrrev_i32 v11, 1, v11 :: v_dual_add_nc_u32 v9, v9, v8
	v_add_nc_u32_e32 v11, v13, v11
	s_delay_alu instid0(VALU_DEP_1) | instskip(SKIP_1) | instid1(VALU_DEP_2)
	v_cndmask_b32_e32 v8, v11, v9, vcc_lo
	v_cmp_le_i32_e32 vcc_lo, v12, v10
	v_ashrrev_i32_e32 v9, 31, v8
	s_and_b32 s20, s0, vcc_lo
	s_lshl_b64 s[0:1], s[14:15], 3
	s_branch .LBB5_6
.LBB5_5:                                ;   in Loop: Header=BB5_6 Depth=1
	s_wait_xcnt 0x0
	s_or_b32 exec_lo, exec_lo, s9
	s_add_co_i32 s17, s17, 0x10000
	s_delay_alu instid0(SALU_CYCLE_1)
	s_cmp_lt_u32 s17, s16
	s_cbranch_scc0 .LBB5_18
.LBB5_6:                                ; =>This Inner Loop Header: Depth=1
	s_mov_b32 s8, 0
	s_and_b32 vcc_lo, exec_lo, s18
	s_mov_b32 s4, -1
	s_cbranch_vccz .LBB5_8
; %bb.7:                                ;   in Loop: Header=BB5_6 Depth=1
	s_mov_b32 s4, 0
	s_and_b32 s8, s10, exec_lo
.LBB5_8:                                ;   in Loop: Header=BB5_6 Depth=1
	s_and_not1_b32 vcc_lo, exec_lo, s4
	s_cbranch_vccnz .LBB5_10
; %bb.9:                                ;   in Loop: Header=BB5_6 Depth=1
	s_and_not1_b32 s4, s8, exec_lo
	s_and_b32 s5, s11, exec_lo
	s_delay_alu instid0(SALU_CYCLE_1)
	s_or_b32 s8, s4, s5
.LBB5_10:                               ;   in Loop: Header=BB5_6 Depth=1
	s_load_b64 s[4:5], s[6:7], s17 offset:0x0 scale_offset
	s_load_b64 s[14:15], s[12:13], s17 offset:0x0 scale_offset
	s_wait_kmcnt 0x0
	s_add_nc_u64 s[4:5], s[4:5], s[2:3]
	s_add_nc_u64 s[14:15], s[14:15], s[0:1]
	v_lshl_add_u64 v[12:13], v[0:1], 3, s[4:5]
	v_lshl_add_u64 v[10:11], v[8:9], 3, s[14:15]
	s_and_saveexec_b32 s9, s8
	s_cbranch_execz .LBB5_12
; %bb.11:                               ;   in Loop: Header=BB5_6 Depth=1
	v_lshl_add_u64 v[14:15], v[4:5], 3, s[4:5]
	s_clause 0x1
	flat_load_b64 v[16:17], v[14:15]
	flat_load_b64 v[18:19], v[12:13]
	;; [unrolled: 1-line block ×3, first 2 shown]
	s_wait_loadcnt_dscnt 0x202
	s_wait_xcnt 0x2
	v_mul_f64_e32 v[14:15], v[2:3], v[16:17]
	s_wait_loadcnt_dscnt 0x0
	s_delay_alu instid0(VALU_DEP_1)
	v_fmac_f64_e32 v[20:21], v[14:15], v[18:19]
	flat_store_b64 v[10:11], v[20:21]
.LBB5_12:                               ;   in Loop: Header=BB5_6 Depth=1
	s_wait_xcnt 0x0
	s_or_b32 exec_lo, exec_lo, s9
	s_delay_alu instid0(SALU_CYCLE_1)
	s_and_not1_b32 vcc_lo, exec_lo, s18
	s_cbranch_vccnz .LBB5_14
; %bb.13:                               ;   in Loop: Header=BB5_6 Depth=1
	s_and_b32 s8, s19, exec_lo
	s_cbranch_execz .LBB5_15
	s_branch .LBB5_16
.LBB5_14:                               ;   in Loop: Header=BB5_6 Depth=1
	s_mov_b32 s8, 0
.LBB5_15:                               ;   in Loop: Header=BB5_6 Depth=1
	s_delay_alu instid0(SALU_CYCLE_1) | instskip(SKIP_1) | instid1(SALU_CYCLE_1)
	s_and_not1_b32 s8, s8, exec_lo
	s_and_b32 s9, s20, exec_lo
	s_or_b32 s8, s8, s9
.LBB5_16:                               ;   in Loop: Header=BB5_6 Depth=1
	s_delay_alu instid0(SALU_CYCLE_1)
	s_and_saveexec_b32 s9, s8
	s_cbranch_execz .LBB5_5
; %bb.17:                               ;   in Loop: Header=BB5_6 Depth=1
	v_lshl_add_u64 v[14:15], v[6:7], 3, s[4:5]
	s_clause 0x1
	flat_load_b64 v[16:17], v[14:15]
	flat_load_b64 v[18:19], v[12:13]
	flat_load_b64 v[20:21], v[10:11] offset:512
	s_wait_loadcnt_dscnt 0x202
	s_wait_xcnt 0x1
	v_mul_f64_e32 v[12:13], v[2:3], v[16:17]
	s_wait_loadcnt_dscnt 0x0
	s_delay_alu instid0(VALU_DEP_1)
	v_fmac_f64_e32 v[20:21], v[12:13], v[18:19]
	flat_store_b64 v[10:11], v[20:21] offset:512
	s_branch .LBB5_5
.LBB5_18:
	s_endpgm
	.section	.rodata,"a",@progbits
	.p2align	6, 0x0
	.amdhsa_kernel _ZL18rocblas_spr_kernelILi64ELi16ELi2E24rocblas_internal_val_ptrIdEPKPKdPKPdEvbbiT2_T3_lllT4_lli
		.amdhsa_group_segment_fixed_size 0
		.amdhsa_private_segment_fixed_size 0
		.amdhsa_kernarg_size 76
		.amdhsa_user_sgpr_count 2
		.amdhsa_user_sgpr_dispatch_ptr 0
		.amdhsa_user_sgpr_queue_ptr 0
		.amdhsa_user_sgpr_kernarg_segment_ptr 1
		.amdhsa_user_sgpr_dispatch_id 0
		.amdhsa_user_sgpr_kernarg_preload_length 0
		.amdhsa_user_sgpr_kernarg_preload_offset 0
		.amdhsa_user_sgpr_private_segment_size 0
		.amdhsa_wavefront_size32 1
		.amdhsa_uses_dynamic_stack 0
		.amdhsa_enable_private_segment 0
		.amdhsa_system_sgpr_workgroup_id_x 1
		.amdhsa_system_sgpr_workgroup_id_y 1
		.amdhsa_system_sgpr_workgroup_id_z 1
		.amdhsa_system_sgpr_workgroup_info 0
		.amdhsa_system_vgpr_workitem_id 1
		.amdhsa_next_free_vgpr 22
		.amdhsa_next_free_sgpr 21
		.amdhsa_named_barrier_count 0
		.amdhsa_reserve_vcc 1
		.amdhsa_float_round_mode_32 0
		.amdhsa_float_round_mode_16_64 0
		.amdhsa_float_denorm_mode_32 3
		.amdhsa_float_denorm_mode_16_64 3
		.amdhsa_fp16_overflow 0
		.amdhsa_memory_ordered 1
		.amdhsa_forward_progress 1
		.amdhsa_inst_pref_size 7
		.amdhsa_round_robin_scheduling 0
		.amdhsa_exception_fp_ieee_invalid_op 0
		.amdhsa_exception_fp_denorm_src 0
		.amdhsa_exception_fp_ieee_div_zero 0
		.amdhsa_exception_fp_ieee_overflow 0
		.amdhsa_exception_fp_ieee_underflow 0
		.amdhsa_exception_fp_ieee_inexact 0
		.amdhsa_exception_int_div_zero 0
	.end_amdhsa_kernel
	.section	.text._ZL18rocblas_spr_kernelILi64ELi16ELi2E24rocblas_internal_val_ptrIdEPKPKdPKPdEvbbiT2_T3_lllT4_lli,"axG",@progbits,_ZL18rocblas_spr_kernelILi64ELi16ELi2E24rocblas_internal_val_ptrIdEPKPKdPKPdEvbbiT2_T3_lllT4_lli,comdat
.Lfunc_end5:
	.size	_ZL18rocblas_spr_kernelILi64ELi16ELi2E24rocblas_internal_val_ptrIdEPKPKdPKPdEvbbiT2_T3_lllT4_lli, .Lfunc_end5-_ZL18rocblas_spr_kernelILi64ELi16ELi2E24rocblas_internal_val_ptrIdEPKPKdPKPdEvbbiT2_T3_lllT4_lli
                                        ; -- End function
	.set _ZL18rocblas_spr_kernelILi64ELi16ELi2E24rocblas_internal_val_ptrIdEPKPKdPKPdEvbbiT2_T3_lllT4_lli.num_vgpr, 22
	.set _ZL18rocblas_spr_kernelILi64ELi16ELi2E24rocblas_internal_val_ptrIdEPKPKdPKPdEvbbiT2_T3_lllT4_lli.num_agpr, 0
	.set _ZL18rocblas_spr_kernelILi64ELi16ELi2E24rocblas_internal_val_ptrIdEPKPKdPKPdEvbbiT2_T3_lllT4_lli.numbered_sgpr, 21
	.set _ZL18rocblas_spr_kernelILi64ELi16ELi2E24rocblas_internal_val_ptrIdEPKPKdPKPdEvbbiT2_T3_lllT4_lli.num_named_barrier, 0
	.set _ZL18rocblas_spr_kernelILi64ELi16ELi2E24rocblas_internal_val_ptrIdEPKPKdPKPdEvbbiT2_T3_lllT4_lli.private_seg_size, 0
	.set _ZL18rocblas_spr_kernelILi64ELi16ELi2E24rocblas_internal_val_ptrIdEPKPKdPKPdEvbbiT2_T3_lllT4_lli.uses_vcc, 1
	.set _ZL18rocblas_spr_kernelILi64ELi16ELi2E24rocblas_internal_val_ptrIdEPKPKdPKPdEvbbiT2_T3_lllT4_lli.uses_flat_scratch, 1
	.set _ZL18rocblas_spr_kernelILi64ELi16ELi2E24rocblas_internal_val_ptrIdEPKPKdPKPdEvbbiT2_T3_lllT4_lli.has_dyn_sized_stack, 0
	.set _ZL18rocblas_spr_kernelILi64ELi16ELi2E24rocblas_internal_val_ptrIdEPKPKdPKPdEvbbiT2_T3_lllT4_lli.has_recursion, 0
	.set _ZL18rocblas_spr_kernelILi64ELi16ELi2E24rocblas_internal_val_ptrIdEPKPKdPKPdEvbbiT2_T3_lllT4_lli.has_indirect_call, 0
	.section	.AMDGPU.csdata,"",@progbits
; Kernel info:
; codeLenInByte = 872
; TotalNumSgprs: 23
; NumVgprs: 22
; ScratchSize: 0
; MemoryBound: 1
; FloatMode: 240
; IeeeMode: 1
; LDSByteSize: 0 bytes/workgroup (compile time only)
; SGPRBlocks: 0
; VGPRBlocks: 1
; NumSGPRsForWavesPerEU: 23
; NumVGPRsForWavesPerEU: 22
; NamedBarCnt: 0
; Occupancy: 16
; WaveLimiterHint : 1
; COMPUTE_PGM_RSRC2:SCRATCH_EN: 0
; COMPUTE_PGM_RSRC2:USER_SGPR: 2
; COMPUTE_PGM_RSRC2:TRAP_HANDLER: 0
; COMPUTE_PGM_RSRC2:TGID_X_EN: 1
; COMPUTE_PGM_RSRC2:TGID_Y_EN: 1
; COMPUTE_PGM_RSRC2:TGID_Z_EN: 1
; COMPUTE_PGM_RSRC2:TIDIG_COMP_CNT: 1
	.section	.text._ZL18rocblas_spr_kernelILi64ELi16ELi2E24rocblas_internal_val_ptrI19rocblas_complex_numIfEEPKPKS2_PKPS2_EvbbiT2_T3_lllT4_lli,"axG",@progbits,_ZL18rocblas_spr_kernelILi64ELi16ELi2E24rocblas_internal_val_ptrI19rocblas_complex_numIfEEPKPKS2_PKPS2_EvbbiT2_T3_lllT4_lli,comdat
	.globl	_ZL18rocblas_spr_kernelILi64ELi16ELi2E24rocblas_internal_val_ptrI19rocblas_complex_numIfEEPKPKS2_PKPS2_EvbbiT2_T3_lllT4_lli ; -- Begin function _ZL18rocblas_spr_kernelILi64ELi16ELi2E24rocblas_internal_val_ptrI19rocblas_complex_numIfEEPKPKS2_PKPS2_EvbbiT2_T3_lllT4_lli
	.p2align	8
	.type	_ZL18rocblas_spr_kernelILi64ELi16ELi2E24rocblas_internal_val_ptrI19rocblas_complex_numIfEEPKPKS2_PKPS2_EvbbiT2_T3_lllT4_lli,@function
_ZL18rocblas_spr_kernelILi64ELi16ELi2E24rocblas_internal_val_ptrI19rocblas_complex_numIfEEPKPKS2_PKPS2_EvbbiT2_T3_lllT4_lli: ; @_ZL18rocblas_spr_kernelILi64ELi16ELi2E24rocblas_internal_val_ptrI19rocblas_complex_numIfEEPKPKS2_PKPS2_EvbbiT2_T3_lllT4_lli
; %bb.0:
	s_clause 0x1
	s_load_b32 s2, s[0:1], 0x0
	s_load_b256 s[8:15], s[0:1], 0x8
	s_wait_kmcnt 0x0
	s_bitcmp0_b32 s2, 0
	s_mov_b32 s2, 0
	s_cbranch_scc0 .LBB6_2
; %bb.1:
	s_load_b64 s[20:21], s[8:9], 0x0
	s_and_not1_b32 vcc_lo, exec_lo, s2
	s_cbranch_vccz .LBB6_3
	s_branch .LBB6_4
.LBB6_2:
                                        ; implicit-def: $sgpr20_sgpr21
.LBB6_3:
	s_wait_kmcnt 0x0
	s_mov_b64 s[20:21], s[8:9]
.LBB6_4:
	s_wait_kmcnt 0x0
	s_cmp_neq_f32 s20, 0
	s_cselect_b32 s2, -1, 0
	s_cmp_neq_f32 s21, 0
	s_cselect_b32 s3, -1, 0
	s_delay_alu instid0(SALU_CYCLE_1) | instskip(NEXT) | instid1(SALU_CYCLE_1)
	s_or_b32 s2, s2, s3
	s_and_not1_b32 vcc_lo, exec_lo, s2
	s_cbranch_vccnz .LBB6_20
; %bb.5:
	s_load_b32 s7, s[0:1], 0x48
	s_bfe_u32 s2, ttmp6, 0x40014
	s_lshr_b32 s3, ttmp7, 16
	s_add_co_i32 s2, s2, 1
	s_bfe_u32 s5, ttmp6, 0x40008
	s_mul_i32 s4, s3, s2
	s_getreg_b32 s2, hwreg(HW_REG_IB_STS2, 6, 4)
	s_add_co_i32 s5, s5, s4
	s_cmp_eq_u32 s2, 0
	s_cselect_b32 s22, s3, s5
	s_wait_kmcnt 0x0
	s_cmp_ge_u32 s22, s7
	s_cbranch_scc1 .LBB6_20
; %bb.6:
	s_clause 0x1
	s_load_b64 s[4:5], s[0:1], 0x0
	s_load_b128 s[16:19], s[0:1], 0x30
	v_bfe_u32 v1, v0, 10, 10
	v_and_b32_e32 v0, 0x3ff, v0
	s_mov_b32 s8, s21
	s_mov_b32 s9, s20
	s_wait_kmcnt 0x0
	s_bitcmp1_b32 s4, 8
	s_cselect_b32 vcc_lo, -1, 0
	s_bfe_u32 s1, ttmp6, 0x40010
	s_bfe_u32 s6, ttmp6, 0x4000c
	s_and_b32 s0, ttmp7, 0xffff
	s_add_co_i32 s1, s1, 1
	s_add_co_i32 s6, s6, 1
	s_bfe_u32 s3, ttmp6, 0x40004
	s_and_b32 s4, ttmp6, 15
	s_mul_i32 s1, s0, s1
	s_mul_i32 s6, ttmp9, s6
	s_xor_b32 s23, vcc_lo, -1
	s_add_co_i32 s3, s3, s1
	s_add_co_i32 s4, s4, s6
	s_cmp_eq_u32 s2, 0
	s_cselect_b32 s0, s0, s3
	s_delay_alu instid0(SALU_CYCLE_1) | instskip(SKIP_3) | instid1(VALU_DEP_2)
	v_lshl_add_u32 v6, s0, 4, v1
	s_cselect_b32 s0, ttmp9, s4
	s_lshl_b32 s1, s5, 1
	v_lshl_add_u32 v8, s0, 7, v0
	v_sub_nc_u32_e32 v0, s1, v6
	v_mad_u32 v12, v6, v6, v6
	s_delay_alu instid0(VALU_DEP_3) | instskip(SKIP_1) | instid1(VALU_DEP_4)
	v_dual_ashrrev_i32 v7, 31, v6 :: v_dual_ashrrev_i32 v9, 31, v8
	v_add_nc_u32_e32 v10, 64, v8
	v_mad_u32 v13, v6, v0, v6
	v_cmp_gt_i32_e64 s0, s5, v6
	s_delay_alu instid0(VALU_DEP_4)
	v_mul_u64_e32 v[0:1], s[14:15], v[6:7]
	v_mul_u64_e32 v[2:3], s[14:15], v[8:9]
	v_ashrrev_i32_e32 v11, 31, v10
	v_cmp_gt_i32_e64 s1, s5, v8
	v_cmp_ge_i32_e64 s2, v8, v6
	v_lshrrev_b32_e32 v7, 31, v12
	v_cmp_le_i32_e64 s3, v8, v6
	v_mul_u64_e32 v[4:5], s[14:15], v[10:11]
	v_dual_sub_nc_u32 v11, v8, v6 :: v_dual_lshrrev_b32 v9, 31, v13
	s_delay_alu instid0(VALU_DEP_4) | instskip(SKIP_3) | instid1(VALU_DEP_4)
	v_add_nc_u32_e32 v7, v12, v7
	v_cmp_gt_i32_e64 s4, s5, v10
	v_cmp_le_i32_e64 s5, v6, v10
	v_cmp_le_i32_e64 s6, v10, v6
	v_dual_add_nc_u32 v9, v13, v9 :: v_dual_ashrrev_i32 v7, 1, v7
	s_and_b32 s14, s2, s1
	s_and_b32 s15, s3, s0
	;; [unrolled: 1-line block ×3, first 2 shown]
	s_delay_alu instid0(VALU_DEP_1) | instskip(SKIP_3) | instid1(VALU_DEP_1)
	v_dual_ashrrev_i32 v9, 1, v9 :: v_dual_add_nc_u32 v7, v7, v8
	s_and_b32 s5, s0, s6
	s_lshl_b64 s[0:1], s[18:19], 3
	s_lshl_b64 s[2:3], s[12:13], 3
	v_add_nc_u32_e32 v9, v11, v9
	s_delay_alu instid0(VALU_DEP_1) | instskip(NEXT) | instid1(VALU_DEP_1)
	v_cndmask_b32_e32 v6, v9, v7, vcc_lo
	v_ashrrev_i32_e32 v7, 31, v6
	s_branch .LBB6_8
.LBB6_7:                                ;   in Loop: Header=BB6_8 Depth=1
	s_wait_xcnt 0x0
	s_or_b32 exec_lo, exec_lo, s6
	s_add_co_i32 s22, s22, 0x10000
	s_delay_alu instid0(SALU_CYCLE_1)
	s_cmp_lt_u32 s22, s7
	s_cbranch_scc0 .LBB6_20
.LBB6_8:                                ; =>This Inner Loop Header: Depth=1
	v_mov_b32_e32 v12, s22
	s_and_b32 vcc_lo, exec_lo, s23
	s_mov_b32 s12, 0
	s_mov_b32 s6, -1
	s_clause 0x1
	global_load_b64 v[8:9], v12, s[16:17] scale_offset
	global_load_b64 v[10:11], v12, s[10:11] scale_offset
	s_cbranch_vccz .LBB6_10
; %bb.9:                                ;   in Loop: Header=BB6_8 Depth=1
	s_mov_b32 s6, 0
	s_and_b32 s12, s14, exec_lo
.LBB6_10:                               ;   in Loop: Header=BB6_8 Depth=1
	s_and_not1_b32 vcc_lo, exec_lo, s6
	s_cbranch_vccnz .LBB6_12
; %bb.11:                               ;   in Loop: Header=BB6_8 Depth=1
	s_and_not1_b32 s6, s12, exec_lo
	s_and_b32 s12, s15, exec_lo
	s_delay_alu instid0(SALU_CYCLE_1)
	s_or_b32 s12, s6, s12
.LBB6_12:                               ;   in Loop: Header=BB6_8 Depth=1
	s_wait_loadcnt 0x0
	s_wait_xcnt 0x0
	v_add_nc_u64_e32 v[12:13], s[2:3], v[10:11]
	v_add_nc_u64_e32 v[8:9], s[0:1], v[8:9]
	s_delay_alu instid0(VALU_DEP_2) | instskip(NEXT) | instid1(VALU_DEP_2)
	v_lshl_add_u64 v[10:11], v[0:1], 3, v[12:13]
	v_lshl_add_u64 v[8:9], v[6:7], 3, v[8:9]
	s_and_saveexec_b32 s6, s12
	s_cbranch_execz .LBB6_14
; %bb.13:                               ;   in Loop: Header=BB6_8 Depth=1
	v_lshl_add_u64 v[14:15], v[2:3], 3, v[12:13]
	v_mov_b64_e32 v[22:23], s[20:21]
	s_clause 0x1
	flat_load_b64 v[16:17], v[14:15]
	flat_load_b64 v[18:19], v[10:11]
	;; [unrolled: 1-line block ×3, first 2 shown]
	s_wait_xcnt 0x2
	v_mov_b64_e32 v[14:15], s[8:9]
	s_wait_loadcnt_dscnt 0x202
	s_delay_alu instid0(VALU_DEP_1) | instskip(SKIP_1) | instid1(VALU_DEP_2)
	v_pk_mul_f32 v[14:15], v[14:15], v[16:17]
	v_pk_mul_f32 v[16:17], v[22:23], v[16:17]
	v_add_f32_e32 v14, v14, v15
	s_delay_alu instid0(VALU_DEP_2) | instskip(SKIP_1) | instid1(VALU_DEP_2)
	v_pk_add_f32 v[16:17], v[16:17], v[16:17] op_sel:[0,1] op_sel_hi:[0,1] neg_lo:[0,1] neg_hi:[0,1]
	s_wait_loadcnt_dscnt 0x101
	v_pk_mul_f32 v[14:15], v[18:19], v[14:15] op_sel:[1,0] op_sel_hi:[0,0]
	s_delay_alu instid0(VALU_DEP_1) | instskip(SKIP_1) | instid1(VALU_DEP_2)
	v_pk_fma_f32 v[22:23], v[18:19], v[16:17], v[14:15]
	v_pk_fma_f32 v[14:15], v[18:19], v[16:17], v[14:15] neg_lo:[0,0,1] neg_hi:[0,0,1]
	v_mov_b32_e32 v15, v23
	s_wait_loadcnt_dscnt 0x0
	s_delay_alu instid0(VALU_DEP_1)
	v_pk_add_f32 v[14:15], v[20:21], v[14:15]
	flat_store_b64 v[8:9], v[14:15]
.LBB6_14:                               ;   in Loop: Header=BB6_8 Depth=1
	s_wait_xcnt 0x0
	s_or_b32 exec_lo, exec_lo, s6
	s_delay_alu instid0(SALU_CYCLE_1)
	s_and_not1_b32 vcc_lo, exec_lo, s23
	s_cbranch_vccnz .LBB6_16
; %bb.15:                               ;   in Loop: Header=BB6_8 Depth=1
	s_and_b32 s12, s4, exec_lo
	s_cbranch_execz .LBB6_17
	s_branch .LBB6_18
.LBB6_16:                               ;   in Loop: Header=BB6_8 Depth=1
	s_mov_b32 s12, 0
.LBB6_17:                               ;   in Loop: Header=BB6_8 Depth=1
	s_delay_alu instid0(SALU_CYCLE_1) | instskip(SKIP_1) | instid1(SALU_CYCLE_1)
	s_and_not1_b32 s6, s12, exec_lo
	s_and_b32 s12, s5, exec_lo
	s_or_b32 s12, s6, s12
.LBB6_18:                               ;   in Loop: Header=BB6_8 Depth=1
	s_delay_alu instid0(SALU_CYCLE_1)
	s_and_saveexec_b32 s6, s12
	s_cbranch_execz .LBB6_7
; %bb.19:                               ;   in Loop: Header=BB6_8 Depth=1
	v_lshl_add_u64 v[12:13], v[4:5], 3, v[12:13]
	s_clause 0x1
	flat_load_b64 v[14:15], v[12:13]
	flat_load_b64 v[16:17], v[10:11]
	flat_load_b64 v[18:19], v[8:9] offset:512
	s_wait_xcnt 0x1
	v_mov_b64_e32 v[10:11], s[8:9]
	v_mov_b64_e32 v[12:13], s[20:21]
	s_wait_loadcnt_dscnt 0x202
	s_delay_alu instid0(VALU_DEP_2) | instskip(NEXT) | instid1(VALU_DEP_2)
	v_pk_mul_f32 v[10:11], v[10:11], v[14:15]
	v_pk_mul_f32 v[12:13], v[12:13], v[14:15]
	s_delay_alu instid0(VALU_DEP_2) | instskip(NEXT) | instid1(VALU_DEP_2)
	v_add_f32_e32 v10, v10, v11
	v_pk_add_f32 v[12:13], v[12:13], v[12:13] op_sel:[0,1] op_sel_hi:[0,1] neg_lo:[0,1] neg_hi:[0,1]
	s_wait_loadcnt_dscnt 0x101
	s_delay_alu instid0(VALU_DEP_2) | instskip(NEXT) | instid1(VALU_DEP_1)
	v_pk_mul_f32 v[10:11], v[16:17], v[10:11] op_sel:[1,0] op_sel_hi:[0,0]
	v_pk_fma_f32 v[14:15], v[16:17], v[12:13], v[10:11]
	v_pk_fma_f32 v[10:11], v[16:17], v[12:13], v[10:11] neg_lo:[0,0,1] neg_hi:[0,0,1]
	s_delay_alu instid0(VALU_DEP_2) | instskip(SKIP_1) | instid1(VALU_DEP_1)
	v_mov_b32_e32 v11, v15
	s_wait_loadcnt_dscnt 0x0
	v_pk_add_f32 v[10:11], v[18:19], v[10:11]
	flat_store_b64 v[8:9], v[10:11] offset:512
	s_branch .LBB6_7
.LBB6_20:
	s_endpgm
	.section	.rodata,"a",@progbits
	.p2align	6, 0x0
	.amdhsa_kernel _ZL18rocblas_spr_kernelILi64ELi16ELi2E24rocblas_internal_val_ptrI19rocblas_complex_numIfEEPKPKS2_PKPS2_EvbbiT2_T3_lllT4_lli
		.amdhsa_group_segment_fixed_size 0
		.amdhsa_private_segment_fixed_size 0
		.amdhsa_kernarg_size 76
		.amdhsa_user_sgpr_count 2
		.amdhsa_user_sgpr_dispatch_ptr 0
		.amdhsa_user_sgpr_queue_ptr 0
		.amdhsa_user_sgpr_kernarg_segment_ptr 1
		.amdhsa_user_sgpr_dispatch_id 0
		.amdhsa_user_sgpr_kernarg_preload_length 0
		.amdhsa_user_sgpr_kernarg_preload_offset 0
		.amdhsa_user_sgpr_private_segment_size 0
		.amdhsa_wavefront_size32 1
		.amdhsa_uses_dynamic_stack 0
		.amdhsa_enable_private_segment 0
		.amdhsa_system_sgpr_workgroup_id_x 1
		.amdhsa_system_sgpr_workgroup_id_y 1
		.amdhsa_system_sgpr_workgroup_id_z 1
		.amdhsa_system_sgpr_workgroup_info 0
		.amdhsa_system_vgpr_workitem_id 1
		.amdhsa_next_free_vgpr 24
		.amdhsa_next_free_sgpr 24
		.amdhsa_named_barrier_count 0
		.amdhsa_reserve_vcc 1
		.amdhsa_float_round_mode_32 0
		.amdhsa_float_round_mode_16_64 0
		.amdhsa_float_denorm_mode_32 3
		.amdhsa_float_denorm_mode_16_64 3
		.amdhsa_fp16_overflow 0
		.amdhsa_memory_ordered 1
		.amdhsa_forward_progress 1
		.amdhsa_inst_pref_size 9
		.amdhsa_round_robin_scheduling 0
		.amdhsa_exception_fp_ieee_invalid_op 0
		.amdhsa_exception_fp_denorm_src 0
		.amdhsa_exception_fp_ieee_div_zero 0
		.amdhsa_exception_fp_ieee_overflow 0
		.amdhsa_exception_fp_ieee_underflow 0
		.amdhsa_exception_fp_ieee_inexact 0
		.amdhsa_exception_int_div_zero 0
	.end_amdhsa_kernel
	.section	.text._ZL18rocblas_spr_kernelILi64ELi16ELi2E24rocblas_internal_val_ptrI19rocblas_complex_numIfEEPKPKS2_PKPS2_EvbbiT2_T3_lllT4_lli,"axG",@progbits,_ZL18rocblas_spr_kernelILi64ELi16ELi2E24rocblas_internal_val_ptrI19rocblas_complex_numIfEEPKPKS2_PKPS2_EvbbiT2_T3_lllT4_lli,comdat
.Lfunc_end6:
	.size	_ZL18rocblas_spr_kernelILi64ELi16ELi2E24rocblas_internal_val_ptrI19rocblas_complex_numIfEEPKPKS2_PKPS2_EvbbiT2_T3_lllT4_lli, .Lfunc_end6-_ZL18rocblas_spr_kernelILi64ELi16ELi2E24rocblas_internal_val_ptrI19rocblas_complex_numIfEEPKPKS2_PKPS2_EvbbiT2_T3_lllT4_lli
                                        ; -- End function
	.set _ZL18rocblas_spr_kernelILi64ELi16ELi2E24rocblas_internal_val_ptrI19rocblas_complex_numIfEEPKPKS2_PKPS2_EvbbiT2_T3_lllT4_lli.num_vgpr, 24
	.set _ZL18rocblas_spr_kernelILi64ELi16ELi2E24rocblas_internal_val_ptrI19rocblas_complex_numIfEEPKPKS2_PKPS2_EvbbiT2_T3_lllT4_lli.num_agpr, 0
	.set _ZL18rocblas_spr_kernelILi64ELi16ELi2E24rocblas_internal_val_ptrI19rocblas_complex_numIfEEPKPKS2_PKPS2_EvbbiT2_T3_lllT4_lli.numbered_sgpr, 24
	.set _ZL18rocblas_spr_kernelILi64ELi16ELi2E24rocblas_internal_val_ptrI19rocblas_complex_numIfEEPKPKS2_PKPS2_EvbbiT2_T3_lllT4_lli.num_named_barrier, 0
	.set _ZL18rocblas_spr_kernelILi64ELi16ELi2E24rocblas_internal_val_ptrI19rocblas_complex_numIfEEPKPKS2_PKPS2_EvbbiT2_T3_lllT4_lli.private_seg_size, 0
	.set _ZL18rocblas_spr_kernelILi64ELi16ELi2E24rocblas_internal_val_ptrI19rocblas_complex_numIfEEPKPKS2_PKPS2_EvbbiT2_T3_lllT4_lli.uses_vcc, 1
	.set _ZL18rocblas_spr_kernelILi64ELi16ELi2E24rocblas_internal_val_ptrI19rocblas_complex_numIfEEPKPKS2_PKPS2_EvbbiT2_T3_lllT4_lli.uses_flat_scratch, 1
	.set _ZL18rocblas_spr_kernelILi64ELi16ELi2E24rocblas_internal_val_ptrI19rocblas_complex_numIfEEPKPKS2_PKPS2_EvbbiT2_T3_lllT4_lli.has_dyn_sized_stack, 0
	.set _ZL18rocblas_spr_kernelILi64ELi16ELi2E24rocblas_internal_val_ptrI19rocblas_complex_numIfEEPKPKS2_PKPS2_EvbbiT2_T3_lllT4_lli.has_recursion, 0
	.set _ZL18rocblas_spr_kernelILi64ELi16ELi2E24rocblas_internal_val_ptrI19rocblas_complex_numIfEEPKPKS2_PKPS2_EvbbiT2_T3_lllT4_lli.has_indirect_call, 0
	.section	.AMDGPU.csdata,"",@progbits
; Kernel info:
; codeLenInByte = 1084
; TotalNumSgprs: 26
; NumVgprs: 24
; ScratchSize: 0
; MemoryBound: 0
; FloatMode: 240
; IeeeMode: 1
; LDSByteSize: 0 bytes/workgroup (compile time only)
; SGPRBlocks: 0
; VGPRBlocks: 1
; NumSGPRsForWavesPerEU: 26
; NumVGPRsForWavesPerEU: 24
; NamedBarCnt: 0
; Occupancy: 16
; WaveLimiterHint : 1
; COMPUTE_PGM_RSRC2:SCRATCH_EN: 0
; COMPUTE_PGM_RSRC2:USER_SGPR: 2
; COMPUTE_PGM_RSRC2:TRAP_HANDLER: 0
; COMPUTE_PGM_RSRC2:TGID_X_EN: 1
; COMPUTE_PGM_RSRC2:TGID_Y_EN: 1
; COMPUTE_PGM_RSRC2:TGID_Z_EN: 1
; COMPUTE_PGM_RSRC2:TIDIG_COMP_CNT: 1
	.section	.text._ZL18rocblas_spr_kernelILi64ELi16ELi1E24rocblas_internal_val_ptrI19rocblas_complex_numIdEEPKPKS2_PKPS2_EvbbiT2_T3_lllT4_lli,"axG",@progbits,_ZL18rocblas_spr_kernelILi64ELi16ELi1E24rocblas_internal_val_ptrI19rocblas_complex_numIdEEPKPKS2_PKPS2_EvbbiT2_T3_lllT4_lli,comdat
	.globl	_ZL18rocblas_spr_kernelILi64ELi16ELi1E24rocblas_internal_val_ptrI19rocblas_complex_numIdEEPKPKS2_PKPS2_EvbbiT2_T3_lllT4_lli ; -- Begin function _ZL18rocblas_spr_kernelILi64ELi16ELi1E24rocblas_internal_val_ptrI19rocblas_complex_numIdEEPKPKS2_PKPS2_EvbbiT2_T3_lllT4_lli
	.p2align	8
	.type	_ZL18rocblas_spr_kernelILi64ELi16ELi1E24rocblas_internal_val_ptrI19rocblas_complex_numIdEEPKPKS2_PKPS2_EvbbiT2_T3_lllT4_lli,@function
_ZL18rocblas_spr_kernelILi64ELi16ELi1E24rocblas_internal_val_ptrI19rocblas_complex_numIdEEPKPKS2_PKPS2_EvbbiT2_T3_lllT4_lli: ; @_ZL18rocblas_spr_kernelILi64ELi16ELi1E24rocblas_internal_val_ptrI19rocblas_complex_numIdEEPKPKS2_PKPS2_EvbbiT2_T3_lllT4_lli
; %bb.0:
	s_clause 0x1
	s_load_b32 s4, s[0:1], 0x0
	s_load_b64 s[2:3], s[0:1], 0x8
	s_mov_b32 s8, 0
	s_wait_kmcnt 0x0
	s_bitcmp0_b32 s4, 0
	s_cbranch_scc0 .LBB7_2
; %bb.1:
	s_load_b128 s[4:7], s[2:3], 0x0
	s_and_not1_b32 vcc_lo, exec_lo, s8
	s_cbranch_vccz .LBB7_3
	s_branch .LBB7_4
.LBB7_2:
                                        ; implicit-def: $sgpr6_sgpr7
.LBB7_3:
	s_wait_kmcnt 0x0
	s_load_b64 s[6:7], s[0:1], 0x10
	s_mov_b64 s[4:5], s[2:3]
.LBB7_4:
	s_wait_kmcnt 0x0
	v_cmp_neq_f64_e64 s2, s[4:5], 0
	v_cmp_neq_f64_e64 s3, s[6:7], 0
	s_or_b32 s2, s2, s3
	s_delay_alu instid0(SALU_CYCLE_1)
	s_and_not1_b32 vcc_lo, exec_lo, s2
	s_cbranch_vccnz .LBB7_14
; %bb.5:
	s_load_b32 s16, s[0:1], 0x50
	s_bfe_u32 s2, ttmp6, 0x40014
	s_lshr_b32 s3, ttmp7, 16
	s_add_co_i32 s2, s2, 1
	s_bfe_u32 s9, ttmp6, 0x40008
	s_mul_i32 s8, s3, s2
	s_getreg_b32 s2, hwreg(HW_REG_IB_STS2, 6, 4)
	s_add_co_i32 s9, s9, s8
	s_cmp_eq_u32 s2, 0
	s_cselect_b32 s17, s3, s9
	s_wait_kmcnt 0x0
	s_cmp_ge_u32 s17, s16
	s_cbranch_scc1 .LBB7_14
; %bb.6:
	s_clause 0x1
	s_load_b64 s[18:19], s[0:1], 0x0
	s_load_b128 s[8:11], s[0:1], 0x18
	v_bfe_u32 v1, v0, 10, 10
	v_and_b32_e32 v0, 0x3ff, v0
	s_wait_kmcnt 0x0
	s_bitcmp1_b32 s18, 8
	s_cselect_b32 vcc_lo, -1, 0
	s_bfe_u32 s12, ttmp6, 0x40010
	s_bfe_u32 s15, ttmp6, 0x4000c
	s_and_b32 s3, ttmp7, 0xffff
	s_add_co_i32 s12, s12, 1
	s_add_co_i32 s15, s15, 1
	s_bfe_u32 s13, ttmp6, 0x40004
	s_and_b32 s14, ttmp6, 15
	s_mul_i32 s12, s3, s12
	s_mul_i32 s15, ttmp9, s15
	s_xor_b32 s18, vcc_lo, -1
	s_add_co_i32 s13, s13, s12
	s_add_co_i32 s14, s14, s15
	s_cmp_eq_u32 s2, 0
	s_cselect_b32 s12, s3, s13
	s_load_b64 s[2:3], s[0:1], 0x28
	v_lshl_add_u32 v6, s12, 4, v1
	s_cselect_b32 s12, ttmp9, s14
	s_lshl_b32 s13, s19, 1
	v_lshl_add_u32 v8, s12, 6, v0
	s_delay_alu instid0(VALU_DEP_2)
	v_dual_sub_nc_u32 v1, s13, v6 :: v_dual_ashrrev_i32 v7, 31, v6
	v_mad_u32 v5, v6, v6, v6
	s_load_b128 s[12:15], s[0:1], 0x38
	s_wait_xcnt 0x0
	v_cmp_gt_i32_e64 s0, s19, v8
	v_mad_u32 v4, v6, v1, v6
	v_cmp_ge_i32_e64 s1, v8, v6
	s_wait_kmcnt 0x0
	v_mul_u64_e32 v[0:1], s[2:3], v[6:7]
	s_delay_alu instid0(VALU_DEP_3) | instskip(NEXT) | instid1(VALU_DEP_1)
	v_lshrrev_b32_e32 v7, 31, v4
	v_dual_ashrrev_i32 v9, 31, v8 :: v_dual_add_nc_u32 v4, v4, v7
	s_delay_alu instid0(VALU_DEP_1)
	v_mul_u64_e32 v[2:3], s[2:3], v[8:9]
	v_dual_lshrrev_b32 v9, 31, v5 :: v_dual_sub_nc_u32 v7, v8, v6
	v_cmp_gt_i32_e64 s2, s19, v6
	s_and_b32 s19, s1, s0
	s_lshl_b64 s[0:1], s[14:15], 4
	v_dual_add_nc_u32 v5, v5, v9 :: v_dual_ashrrev_i32 v4, 1, v4
	s_delay_alu instid0(VALU_DEP_1) | instskip(NEXT) | instid1(VALU_DEP_1)
	v_dual_ashrrev_i32 v5, 1, v5 :: v_dual_add_nc_u32 v4, v7, v4
	v_add_nc_u32_e32 v5, v5, v8
	s_delay_alu instid0(VALU_DEP_1) | instskip(SKIP_1) | instid1(VALU_DEP_2)
	v_cndmask_b32_e32 v4, v4, v5, vcc_lo
	v_cmp_le_i32_e32 vcc_lo, v8, v6
	v_ashrrev_i32_e32 v5, 31, v4
	s_and_b32 s20, vcc_lo, s2
	s_lshl_b64 s[2:3], s[10:11], 4
	s_branch .LBB7_8
.LBB7_7:                                ;   in Loop: Header=BB7_8 Depth=1
	s_wait_xcnt 0x0
	s_or_b32 exec_lo, exec_lo, s10
	s_add_co_i32 s17, s17, 0x10000
	s_delay_alu instid0(SALU_CYCLE_1)
	s_cmp_lt_u32 s17, s16
	s_cbranch_scc0 .LBB7_14
.LBB7_8:                                ; =>This Inner Loop Header: Depth=1
	s_mov_b32 s11, 0
	s_and_b32 vcc_lo, exec_lo, s18
	s_mov_b32 s10, -1
	s_cbranch_vccnz .LBB7_11
; %bb.9:                                ;   in Loop: Header=BB7_8 Depth=1
	s_and_not1_b32 vcc_lo, exec_lo, s10
	s_cbranch_vccz .LBB7_12
.LBB7_10:                               ;   in Loop: Header=BB7_8 Depth=1
	s_and_saveexec_b32 s10, s11
	s_cbranch_execz .LBB7_7
	s_branch .LBB7_13
.LBB7_11:                               ;   in Loop: Header=BB7_8 Depth=1
	s_and_b32 s11, s19, exec_lo
	s_cbranch_execnz .LBB7_10
.LBB7_12:                               ;   in Loop: Header=BB7_8 Depth=1
	s_and_not1_b32 s10, s11, exec_lo
	s_and_b32 s11, s20, exec_lo
	s_delay_alu instid0(SALU_CYCLE_1) | instskip(NEXT) | instid1(SALU_CYCLE_1)
	s_or_b32 s11, s10, s11
	s_and_saveexec_b32 s10, s11
	s_cbranch_execz .LBB7_7
.LBB7_13:                               ;   in Loop: Header=BB7_8 Depth=1
	s_load_b64 s[14:15], s[8:9], s17 offset:0x0 scale_offset
	s_wait_kmcnt 0x0
	s_add_nc_u64 s[14:15], s[14:15], s[2:3]
	s_delay_alu instid0(SALU_CYCLE_1)
	v_lshl_add_u64 v[6:7], v[2:3], 4, s[14:15]
	v_lshl_add_u64 v[10:11], v[0:1], 4, s[14:15]
	s_load_b64 s[14:15], s[12:13], s17 offset:0x0 scale_offset
	s_clause 0x1
	flat_load_b128 v[6:9], v[6:7]
	flat_load_b128 v[10:13], v[10:11]
	s_wait_kmcnt 0x0
	s_add_nc_u64 s[14:15], s[14:15], s[0:1]
	s_delay_alu instid0(SALU_CYCLE_1) | instskip(SKIP_4) | instid1(VALU_DEP_2)
	v_lshl_add_u64 v[18:19], v[4:5], 4, s[14:15]
	flat_load_b128 v[14:17], v[18:19]
	s_wait_loadcnt_dscnt 0x202
	v_mul_f64_e32 v[20:21], s[4:5], v[8:9]
	v_mul_f64_e32 v[8:9], s[6:7], v[8:9]
	v_fmac_f64_e32 v[20:21], s[6:7], v[6:7]
	s_wait_xcnt 0x2
	s_delay_alu instid0(VALU_DEP_2) | instskip(SKIP_1) | instid1(VALU_DEP_2)
	v_fma_f64 v[6:7], s[4:5], v[6:7], -v[8:9]
	s_wait_loadcnt_dscnt 0x101
	v_mul_f64_e32 v[8:9], v[12:13], v[20:21]
	v_mul_f64_e32 v[20:21], v[10:11], v[20:21]
	s_delay_alu instid0(VALU_DEP_2) | instskip(NEXT) | instid1(VALU_DEP_2)
	v_fma_f64 v[8:9], v[10:11], v[6:7], -v[8:9]
	v_fmac_f64_e32 v[20:21], v[12:13], v[6:7]
	s_wait_loadcnt_dscnt 0x0
	s_delay_alu instid0(VALU_DEP_2) | instskip(NEXT) | instid1(VALU_DEP_2)
	v_add_f64_e32 v[6:7], v[14:15], v[8:9]
	v_add_f64_e32 v[8:9], v[20:21], v[16:17]
	flat_store_b128 v[18:19], v[6:9]
	s_branch .LBB7_7
.LBB7_14:
	s_endpgm
	.section	.rodata,"a",@progbits
	.p2align	6, 0x0
	.amdhsa_kernel _ZL18rocblas_spr_kernelILi64ELi16ELi1E24rocblas_internal_val_ptrI19rocblas_complex_numIdEEPKPKS2_PKPS2_EvbbiT2_T3_lllT4_lli
		.amdhsa_group_segment_fixed_size 0
		.amdhsa_private_segment_fixed_size 0
		.amdhsa_kernarg_size 84
		.amdhsa_user_sgpr_count 2
		.amdhsa_user_sgpr_dispatch_ptr 0
		.amdhsa_user_sgpr_queue_ptr 0
		.amdhsa_user_sgpr_kernarg_segment_ptr 1
		.amdhsa_user_sgpr_dispatch_id 0
		.amdhsa_user_sgpr_kernarg_preload_length 0
		.amdhsa_user_sgpr_kernarg_preload_offset 0
		.amdhsa_user_sgpr_private_segment_size 0
		.amdhsa_wavefront_size32 1
		.amdhsa_uses_dynamic_stack 0
		.amdhsa_enable_private_segment 0
		.amdhsa_system_sgpr_workgroup_id_x 1
		.amdhsa_system_sgpr_workgroup_id_y 1
		.amdhsa_system_sgpr_workgroup_id_z 1
		.amdhsa_system_sgpr_workgroup_info 0
		.amdhsa_system_vgpr_workitem_id 1
		.amdhsa_next_free_vgpr 22
		.amdhsa_next_free_sgpr 21
		.amdhsa_named_barrier_count 0
		.amdhsa_reserve_vcc 1
		.amdhsa_float_round_mode_32 0
		.amdhsa_float_round_mode_16_64 0
		.amdhsa_float_denorm_mode_32 3
		.amdhsa_float_denorm_mode_16_64 3
		.amdhsa_fp16_overflow 0
		.amdhsa_memory_ordered 1
		.amdhsa_forward_progress 1
		.amdhsa_inst_pref_size 7
		.amdhsa_round_robin_scheduling 0
		.amdhsa_exception_fp_ieee_invalid_op 0
		.amdhsa_exception_fp_denorm_src 0
		.amdhsa_exception_fp_ieee_div_zero 0
		.amdhsa_exception_fp_ieee_overflow 0
		.amdhsa_exception_fp_ieee_underflow 0
		.amdhsa_exception_fp_ieee_inexact 0
		.amdhsa_exception_int_div_zero 0
	.end_amdhsa_kernel
	.section	.text._ZL18rocblas_spr_kernelILi64ELi16ELi1E24rocblas_internal_val_ptrI19rocblas_complex_numIdEEPKPKS2_PKPS2_EvbbiT2_T3_lllT4_lli,"axG",@progbits,_ZL18rocblas_spr_kernelILi64ELi16ELi1E24rocblas_internal_val_ptrI19rocblas_complex_numIdEEPKPKS2_PKPS2_EvbbiT2_T3_lllT4_lli,comdat
.Lfunc_end7:
	.size	_ZL18rocblas_spr_kernelILi64ELi16ELi1E24rocblas_internal_val_ptrI19rocblas_complex_numIdEEPKPKS2_PKPS2_EvbbiT2_T3_lllT4_lli, .Lfunc_end7-_ZL18rocblas_spr_kernelILi64ELi16ELi1E24rocblas_internal_val_ptrI19rocblas_complex_numIdEEPKPKS2_PKPS2_EvbbiT2_T3_lllT4_lli
                                        ; -- End function
	.set _ZL18rocblas_spr_kernelILi64ELi16ELi1E24rocblas_internal_val_ptrI19rocblas_complex_numIdEEPKPKS2_PKPS2_EvbbiT2_T3_lllT4_lli.num_vgpr, 22
	.set _ZL18rocblas_spr_kernelILi64ELi16ELi1E24rocblas_internal_val_ptrI19rocblas_complex_numIdEEPKPKS2_PKPS2_EvbbiT2_T3_lllT4_lli.num_agpr, 0
	.set _ZL18rocblas_spr_kernelILi64ELi16ELi1E24rocblas_internal_val_ptrI19rocblas_complex_numIdEEPKPKS2_PKPS2_EvbbiT2_T3_lllT4_lli.numbered_sgpr, 21
	.set _ZL18rocblas_spr_kernelILi64ELi16ELi1E24rocblas_internal_val_ptrI19rocblas_complex_numIdEEPKPKS2_PKPS2_EvbbiT2_T3_lllT4_lli.num_named_barrier, 0
	.set _ZL18rocblas_spr_kernelILi64ELi16ELi1E24rocblas_internal_val_ptrI19rocblas_complex_numIdEEPKPKS2_PKPS2_EvbbiT2_T3_lllT4_lli.private_seg_size, 0
	.set _ZL18rocblas_spr_kernelILi64ELi16ELi1E24rocblas_internal_val_ptrI19rocblas_complex_numIdEEPKPKS2_PKPS2_EvbbiT2_T3_lllT4_lli.uses_vcc, 1
	.set _ZL18rocblas_spr_kernelILi64ELi16ELi1E24rocblas_internal_val_ptrI19rocblas_complex_numIdEEPKPKS2_PKPS2_EvbbiT2_T3_lllT4_lli.uses_flat_scratch, 1
	.set _ZL18rocblas_spr_kernelILi64ELi16ELi1E24rocblas_internal_val_ptrI19rocblas_complex_numIdEEPKPKS2_PKPS2_EvbbiT2_T3_lllT4_lli.has_dyn_sized_stack, 0
	.set _ZL18rocblas_spr_kernelILi64ELi16ELi1E24rocblas_internal_val_ptrI19rocblas_complex_numIdEEPKPKS2_PKPS2_EvbbiT2_T3_lllT4_lli.has_recursion, 0
	.set _ZL18rocblas_spr_kernelILi64ELi16ELi1E24rocblas_internal_val_ptrI19rocblas_complex_numIdEEPKPKS2_PKPS2_EvbbiT2_T3_lllT4_lli.has_indirect_call, 0
	.section	.AMDGPU.csdata,"",@progbits
; Kernel info:
; codeLenInByte = 804
; TotalNumSgprs: 23
; NumVgprs: 22
; ScratchSize: 0
; MemoryBound: 0
; FloatMode: 240
; IeeeMode: 1
; LDSByteSize: 0 bytes/workgroup (compile time only)
; SGPRBlocks: 0
; VGPRBlocks: 1
; NumSGPRsForWavesPerEU: 23
; NumVGPRsForWavesPerEU: 22
; NamedBarCnt: 0
; Occupancy: 16
; WaveLimiterHint : 1
; COMPUTE_PGM_RSRC2:SCRATCH_EN: 0
; COMPUTE_PGM_RSRC2:USER_SGPR: 2
; COMPUTE_PGM_RSRC2:TRAP_HANDLER: 0
; COMPUTE_PGM_RSRC2:TGID_X_EN: 1
; COMPUTE_PGM_RSRC2:TGID_Y_EN: 1
; COMPUTE_PGM_RSRC2:TGID_Z_EN: 1
; COMPUTE_PGM_RSRC2:TIDIG_COMP_CNT: 1
	.section	.AMDGPU.gpr_maximums,"",@progbits
	.set amdgpu.max_num_vgpr, 0
	.set amdgpu.max_num_agpr, 0
	.set amdgpu.max_num_sgpr, 0
	.section	.AMDGPU.csdata,"",@progbits
	.type	__hip_cuid_9b13d4c684c10fa3,@object ; @__hip_cuid_9b13d4c684c10fa3
	.section	.bss,"aw",@nobits
	.globl	__hip_cuid_9b13d4c684c10fa3
__hip_cuid_9b13d4c684c10fa3:
	.byte	0                               ; 0x0
	.size	__hip_cuid_9b13d4c684c10fa3, 1

	.ident	"AMD clang version 22.0.0git (https://github.com/RadeonOpenCompute/llvm-project roc-7.2.4 26084 f58b06dce1f9c15707c5f808fd002e18c2accf7e)"
	.section	".note.GNU-stack","",@progbits
	.addrsig
	.addrsig_sym __hip_cuid_9b13d4c684c10fa3
	.amdgpu_metadata
---
amdhsa.kernels:
  - .args:
      - .offset:         0
        .size:           1
        .value_kind:     by_value
      - .offset:         1
        .size:           1
        .value_kind:     by_value
      - .offset:         4
        .size:           4
        .value_kind:     by_value
      - .offset:         8
        .size:           8
        .value_kind:     by_value
      - .address_space:  global
        .offset:         16
        .size:           8
        .value_kind:     global_buffer
      - .offset:         24
        .size:           8
        .value_kind:     by_value
      - .offset:         32
        .size:           8
        .value_kind:     by_value
      - .offset:         40
        .size:           8
        .value_kind:     by_value
      - .address_space:  global
        .offset:         48
        .size:           8
        .value_kind:     global_buffer
      - .offset:         56
        .size:           8
        .value_kind:     by_value
      - .offset:         64
        .size:           8
        .value_kind:     by_value
      - .offset:         72
        .size:           4
        .value_kind:     by_value
    .group_segment_fixed_size: 0
    .kernarg_segment_align: 8
    .kernarg_segment_size: 76
    .language:       OpenCL C
    .language_version:
      - 2
      - 0
    .max_flat_workgroup_size: 1024
    .name:           _ZL18rocblas_spr_kernelILi64ELi16ELi2E24rocblas_internal_val_ptrIfEPKfPfEvbbiT2_T3_lllT4_lli
    .private_segment_fixed_size: 0
    .sgpr_count:     28
    .sgpr_spill_count: 0
    .symbol:         _ZL18rocblas_spr_kernelILi64ELi16ELi2E24rocblas_internal_val_ptrIfEPKfPfEvbbiT2_T3_lllT4_lli.kd
    .uniform_work_group_size: 1
    .uses_dynamic_stack: false
    .vgpr_count:     17
    .vgpr_spill_count: 0
    .wavefront_size: 32
  - .args:
      - .offset:         0
        .size:           1
        .value_kind:     by_value
      - .offset:         1
        .size:           1
        .value_kind:     by_value
      - .offset:         4
        .size:           4
        .value_kind:     by_value
      - .offset:         8
        .size:           8
        .value_kind:     by_value
      - .address_space:  global
        .offset:         16
        .size:           8
        .value_kind:     global_buffer
      - .offset:         24
        .size:           8
        .value_kind:     by_value
      - .offset:         32
        .size:           8
        .value_kind:     by_value
      - .offset:         40
        .size:           8
        .value_kind:     by_value
      - .address_space:  global
        .offset:         48
        .size:           8
        .value_kind:     global_buffer
      - .offset:         56
        .size:           8
        .value_kind:     by_value
      - .offset:         64
        .size:           8
        .value_kind:     by_value
      - .offset:         72
        .size:           4
        .value_kind:     by_value
    .group_segment_fixed_size: 0
    .kernarg_segment_align: 8
    .kernarg_segment_size: 76
    .language:       OpenCL C
    .language_version:
      - 2
      - 0
    .max_flat_workgroup_size: 1024
    .name:           _ZL18rocblas_spr_kernelILi64ELi16ELi2E24rocblas_internal_val_ptrIdEPKdPdEvbbiT2_T3_lllT4_lli
    .private_segment_fixed_size: 0
    .sgpr_count:     28
    .sgpr_spill_count: 0
    .symbol:         _ZL18rocblas_spr_kernelILi64ELi16ELi2E24rocblas_internal_val_ptrIdEPKdPdEvbbiT2_T3_lllT4_lli.kd
    .uniform_work_group_size: 1
    .uses_dynamic_stack: false
    .vgpr_count:     22
    .vgpr_spill_count: 0
    .wavefront_size: 32
  - .args:
      - .offset:         0
        .size:           1
        .value_kind:     by_value
      - .offset:         1
        .size:           1
        .value_kind:     by_value
      - .offset:         4
        .size:           4
        .value_kind:     by_value
      - .offset:         8
        .size:           8
        .value_kind:     by_value
      - .address_space:  global
        .offset:         16
        .size:           8
        .value_kind:     global_buffer
      - .offset:         24
        .size:           8
        .value_kind:     by_value
      - .offset:         32
        .size:           8
        .value_kind:     by_value
      - .offset:         40
        .size:           8
        .value_kind:     by_value
      - .address_space:  global
        .offset:         48
        .size:           8
        .value_kind:     global_buffer
      - .offset:         56
        .size:           8
        .value_kind:     by_value
      - .offset:         64
        .size:           8
        .value_kind:     by_value
      - .offset:         72
        .size:           4
        .value_kind:     by_value
    .group_segment_fixed_size: 0
    .kernarg_segment_align: 8
    .kernarg_segment_size: 76
    .language:       OpenCL C
    .language_version:
      - 2
      - 0
    .max_flat_workgroup_size: 1024
    .name:           _ZL18rocblas_spr_kernelILi64ELi16ELi2E24rocblas_internal_val_ptrI19rocblas_complex_numIfEEPKS2_PS2_EvbbiT2_T3_lllT4_lli
    .private_segment_fixed_size: 0
    .sgpr_count:     30
    .sgpr_spill_count: 0
    .symbol:         _ZL18rocblas_spr_kernelILi64ELi16ELi2E24rocblas_internal_val_ptrI19rocblas_complex_numIfEEPKS2_PS2_EvbbiT2_T3_lllT4_lli.kd
    .uniform_work_group_size: 1
    .uses_dynamic_stack: false
    .vgpr_count:     22
    .vgpr_spill_count: 0
    .wavefront_size: 32
  - .args:
      - .offset:         0
        .size:           1
        .value_kind:     by_value
      - .offset:         1
        .size:           1
        .value_kind:     by_value
      - .offset:         4
        .size:           4
        .value_kind:     by_value
      - .offset:         8
        .size:           16
        .value_kind:     by_value
      - .address_space:  global
        .offset:         24
        .size:           8
        .value_kind:     global_buffer
      - .offset:         32
        .size:           8
        .value_kind:     by_value
      - .offset:         40
        .size:           8
        .value_kind:     by_value
      - .offset:         48
        .size:           8
        .value_kind:     by_value
      - .address_space:  global
        .offset:         56
        .size:           8
        .value_kind:     global_buffer
      - .offset:         64
        .size:           8
        .value_kind:     by_value
      - .offset:         72
        .size:           8
        .value_kind:     by_value
      - .offset:         80
        .size:           4
        .value_kind:     by_value
    .group_segment_fixed_size: 0
    .kernarg_segment_align: 8
    .kernarg_segment_size: 84
    .language:       OpenCL C
    .language_version:
      - 2
      - 0
    .max_flat_workgroup_size: 1024
    .name:           _ZL18rocblas_spr_kernelILi64ELi16ELi1E24rocblas_internal_val_ptrI19rocblas_complex_numIdEEPKS2_PS2_EvbbiT2_T3_lllT4_lli
    .private_segment_fixed_size: 0
    .sgpr_count:     31
    .sgpr_spill_count: 0
    .symbol:         _ZL18rocblas_spr_kernelILi64ELi16ELi1E24rocblas_internal_val_ptrI19rocblas_complex_numIdEEPKS2_PS2_EvbbiT2_T3_lllT4_lli.kd
    .uniform_work_group_size: 1
    .uses_dynamic_stack: false
    .vgpr_count:     22
    .vgpr_spill_count: 0
    .wavefront_size: 32
  - .args:
      - .offset:         0
        .size:           1
        .value_kind:     by_value
      - .offset:         1
        .size:           1
        .value_kind:     by_value
      - .offset:         4
        .size:           4
        .value_kind:     by_value
      - .offset:         8
        .size:           8
        .value_kind:     by_value
      - .address_space:  global
        .offset:         16
        .size:           8
        .value_kind:     global_buffer
      - .offset:         24
        .size:           8
        .value_kind:     by_value
      - .offset:         32
        .size:           8
        .value_kind:     by_value
      - .offset:         40
        .size:           8
        .value_kind:     by_value
      - .address_space:  global
        .offset:         48
        .size:           8
        .value_kind:     global_buffer
      - .offset:         56
        .size:           8
        .value_kind:     by_value
      - .offset:         64
        .size:           8
        .value_kind:     by_value
      - .offset:         72
        .size:           4
        .value_kind:     by_value
    .group_segment_fixed_size: 0
    .kernarg_segment_align: 8
    .kernarg_segment_size: 76
    .language:       OpenCL C
    .language_version:
      - 2
      - 0
    .max_flat_workgroup_size: 1024
    .name:           _ZL18rocblas_spr_kernelILi64ELi16ELi2E24rocblas_internal_val_ptrIfEPKPKfPKPfEvbbiT2_T3_lllT4_lli
    .private_segment_fixed_size: 0
    .sgpr_count:     26
    .sgpr_spill_count: 0
    .symbol:         _ZL18rocblas_spr_kernelILi64ELi16ELi2E24rocblas_internal_val_ptrIfEPKPKfPKPfEvbbiT2_T3_lllT4_lli.kd
    .uniform_work_group_size: 1
    .uses_dynamic_stack: false
    .vgpr_count:     17
    .vgpr_spill_count: 0
    .wavefront_size: 32
  - .args:
      - .offset:         0
        .size:           1
        .value_kind:     by_value
      - .offset:         1
        .size:           1
        .value_kind:     by_value
      - .offset:         4
        .size:           4
        .value_kind:     by_value
      - .offset:         8
        .size:           8
        .value_kind:     by_value
      - .address_space:  global
        .offset:         16
        .size:           8
        .value_kind:     global_buffer
      - .offset:         24
        .size:           8
        .value_kind:     by_value
      - .offset:         32
        .size:           8
        .value_kind:     by_value
      - .offset:         40
        .size:           8
        .value_kind:     by_value
      - .address_space:  global
        .offset:         48
        .size:           8
        .value_kind:     global_buffer
      - .offset:         56
        .size:           8
        .value_kind:     by_value
      - .offset:         64
        .size:           8
        .value_kind:     by_value
      - .offset:         72
        .size:           4
        .value_kind:     by_value
    .group_segment_fixed_size: 0
    .kernarg_segment_align: 8
    .kernarg_segment_size: 76
    .language:       OpenCL C
    .language_version:
      - 2
      - 0
    .max_flat_workgroup_size: 1024
    .name:           _ZL18rocblas_spr_kernelILi64ELi16ELi2E24rocblas_internal_val_ptrIdEPKPKdPKPdEvbbiT2_T3_lllT4_lli
    .private_segment_fixed_size: 0
    .sgpr_count:     23
    .sgpr_spill_count: 0
    .symbol:         _ZL18rocblas_spr_kernelILi64ELi16ELi2E24rocblas_internal_val_ptrIdEPKPKdPKPdEvbbiT2_T3_lllT4_lli.kd
    .uniform_work_group_size: 1
    .uses_dynamic_stack: false
    .vgpr_count:     22
    .vgpr_spill_count: 0
    .wavefront_size: 32
  - .args:
      - .offset:         0
        .size:           1
        .value_kind:     by_value
      - .offset:         1
        .size:           1
        .value_kind:     by_value
      - .offset:         4
        .size:           4
        .value_kind:     by_value
      - .offset:         8
        .size:           8
        .value_kind:     by_value
      - .address_space:  global
        .offset:         16
        .size:           8
        .value_kind:     global_buffer
      - .offset:         24
        .size:           8
        .value_kind:     by_value
      - .offset:         32
        .size:           8
        .value_kind:     by_value
      - .offset:         40
        .size:           8
        .value_kind:     by_value
      - .address_space:  global
        .offset:         48
        .size:           8
        .value_kind:     global_buffer
      - .offset:         56
        .size:           8
        .value_kind:     by_value
      - .offset:         64
        .size:           8
        .value_kind:     by_value
      - .offset:         72
        .size:           4
        .value_kind:     by_value
    .group_segment_fixed_size: 0
    .kernarg_segment_align: 8
    .kernarg_segment_size: 76
    .language:       OpenCL C
    .language_version:
      - 2
      - 0
    .max_flat_workgroup_size: 1024
    .name:           _ZL18rocblas_spr_kernelILi64ELi16ELi2E24rocblas_internal_val_ptrI19rocblas_complex_numIfEEPKPKS2_PKPS2_EvbbiT2_T3_lllT4_lli
    .private_segment_fixed_size: 0
    .sgpr_count:     26
    .sgpr_spill_count: 0
    .symbol:         _ZL18rocblas_spr_kernelILi64ELi16ELi2E24rocblas_internal_val_ptrI19rocblas_complex_numIfEEPKPKS2_PKPS2_EvbbiT2_T3_lllT4_lli.kd
    .uniform_work_group_size: 1
    .uses_dynamic_stack: false
    .vgpr_count:     24
    .vgpr_spill_count: 0
    .wavefront_size: 32
  - .args:
      - .offset:         0
        .size:           1
        .value_kind:     by_value
      - .offset:         1
        .size:           1
        .value_kind:     by_value
      - .offset:         4
        .size:           4
        .value_kind:     by_value
      - .offset:         8
        .size:           16
        .value_kind:     by_value
      - .address_space:  global
        .offset:         24
        .size:           8
        .value_kind:     global_buffer
      - .offset:         32
        .size:           8
        .value_kind:     by_value
      - .offset:         40
        .size:           8
        .value_kind:     by_value
      - .offset:         48
        .size:           8
        .value_kind:     by_value
      - .address_space:  global
        .offset:         56
        .size:           8
        .value_kind:     global_buffer
      - .offset:         64
        .size:           8
        .value_kind:     by_value
      - .offset:         72
        .size:           8
        .value_kind:     by_value
      - .offset:         80
        .size:           4
        .value_kind:     by_value
    .group_segment_fixed_size: 0
    .kernarg_segment_align: 8
    .kernarg_segment_size: 84
    .language:       OpenCL C
    .language_version:
      - 2
      - 0
    .max_flat_workgroup_size: 1024
    .name:           _ZL18rocblas_spr_kernelILi64ELi16ELi1E24rocblas_internal_val_ptrI19rocblas_complex_numIdEEPKPKS2_PKPS2_EvbbiT2_T3_lllT4_lli
    .private_segment_fixed_size: 0
    .sgpr_count:     23
    .sgpr_spill_count: 0
    .symbol:         _ZL18rocblas_spr_kernelILi64ELi16ELi1E24rocblas_internal_val_ptrI19rocblas_complex_numIdEEPKPKS2_PKPS2_EvbbiT2_T3_lllT4_lli.kd
    .uniform_work_group_size: 1
    .uses_dynamic_stack: false
    .vgpr_count:     22
    .vgpr_spill_count: 0
    .wavefront_size: 32
amdhsa.target:   amdgcn-amd-amdhsa--gfx1250
amdhsa.version:
  - 1
  - 2
...

	.end_amdgpu_metadata
